;; amdgpu-corpus repo=ROCm/rocFFT kind=compiled arch=gfx1201 opt=O3
	.text
	.amdgcn_target "amdgcn-amd-amdhsa--gfx1201"
	.amdhsa_code_object_version 6
	.protected	bluestein_single_fwd_len476_dim1_sp_op_CI_CI ; -- Begin function bluestein_single_fwd_len476_dim1_sp_op_CI_CI
	.globl	bluestein_single_fwd_len476_dim1_sp_op_CI_CI
	.p2align	8
	.type	bluestein_single_fwd_len476_dim1_sp_op_CI_CI,@function
bluestein_single_fwd_len476_dim1_sp_op_CI_CI: ; @bluestein_single_fwd_len476_dim1_sp_op_CI_CI
; %bb.0:
	s_load_b128 s[4:7], s[0:1], 0x28
	v_mul_u32_u24_e32 v1, 0x788, v0
	s_mov_b32 s2, exec_lo
	s_delay_alu instid0(VALU_DEP_1) | instskip(NEXT) | instid1(VALU_DEP_1)
	v_lshrrev_b32_e32 v1, 16, v1
	v_mad_co_u64_u32 v[44:45], null, ttmp9, 3, v[1:2]
	v_mov_b32_e32 v45, 0
                                        ; kill: def $vgpr2 killed $sgpr0 killed $exec
	s_wait_kmcnt 0x0
	s_delay_alu instid0(VALU_DEP_1)
	v_cmpx_gt_u64_e64 s[4:5], v[44:45]
	s_cbranch_execz .LBB0_15
; %bb.1:
	v_mul_hi_u32 v2, 0xaaaaaaab, v44
	v_mul_lo_u16 v1, v1, 34
	s_clause 0x1
	s_load_b64 s[12:13], s[0:1], 0x0
	s_load_b64 s[14:15], s[0:1], 0x38
	s_delay_alu instid0(VALU_DEP_1) | instskip(NEXT) | instid1(VALU_DEP_3)
	v_sub_nc_u16 v0, v0, v1
	v_lshrrev_b32_e32 v2, 1, v2
	s_delay_alu instid0(VALU_DEP_2) | instskip(SKIP_1) | instid1(VALU_DEP_3)
	v_and_b32_e32 v97, 0xffff, v0
	v_cmp_gt_u16_e32 vcc_lo, 28, v0
	v_lshl_add_u32 v2, v2, 1, v2
	s_delay_alu instid0(VALU_DEP_3) | instskip(SKIP_1) | instid1(VALU_DEP_3)
	v_lshlrev_b32_e32 v94, 3, v97
	v_or_b32_e32 v95, 0xe0, v97
	v_sub_nc_u32_e32 v1, v44, v2
	v_or_b32_e32 v93, 0x1c0, v97
	s_delay_alu instid0(VALU_DEP_2) | instskip(NEXT) | instid1(VALU_DEP_1)
	v_mul_u32_u24_e32 v96, 0x1dc, v1
	v_lshlrev_b32_e32 v98, 3, v96
	s_and_saveexec_b32 s3, vcc_lo
	s_cbranch_execz .LBB0_3
; %bb.2:
	s_load_b64 s[4:5], s[0:1], 0x18
	s_delay_alu instid0(VALU_DEP_1) | instskip(SKIP_1) | instid1(VALU_DEP_2)
	v_add_nc_u32_e32 v71, v98, v94
	v_lshl_add_u32 v72, v97, 3, v98
	v_add_nc_u32_e32 v74, 0x800, v71
	s_wait_kmcnt 0x0
	s_load_b128 s[8:11], s[4:5], 0x0
	s_wait_kmcnt 0x0
	v_mad_co_u64_u32 v[0:1], null, s10, v44, 0
	v_mad_co_u64_u32 v[2:3], null, s8, v97, 0
	;; [unrolled: 1-line block ×3, first 2 shown]
	s_mul_u64 s[4:5], s[8:9], 0xe0
	s_delay_alu instid0(VALU_DEP_2) | instskip(SKIP_1) | instid1(VALU_DEP_3)
	v_mad_co_u64_u32 v[6:7], null, s11, v44, v[1:2]
	v_mad_co_u64_u32 v[7:8], null, s8, v93, 0
	v_mad_co_u64_u32 v[9:10], null, s9, v97, v[3:4]
	s_clause 0x1
	global_load_b64 v[10:11], v94, s[12:13]
	global_load_b64 v[12:13], v94, s[12:13] offset:1792
	v_dual_mov_b32 v1, v6 :: v_dual_mov_b32 v6, v8
	s_delay_alu instid0(VALU_DEP_1) | instskip(NEXT) | instid1(VALU_DEP_2)
	v_lshlrev_b64_e32 v[0:1], 3, v[0:1]
	v_mad_co_u64_u32 v[14:15], null, s9, v93, v[6:7]
	v_mov_b32_e32 v3, v9
	v_mad_co_u64_u32 v[8:9], null, s9, v95, v[5:6]
	s_delay_alu instid0(VALU_DEP_4) | instskip(NEXT) | instid1(VALU_DEP_1)
	v_add_co_u32 v18, s2, s6, v0
	v_add_co_ci_u32_e64 v19, s2, s7, v1, s2
	s_delay_alu instid0(VALU_DEP_3) | instskip(SKIP_1) | instid1(VALU_DEP_2)
	v_dual_mov_b32 v5, v8 :: v_dual_mov_b32 v8, v14
	v_lshlrev_b64_e32 v[2:3], 3, v[2:3]
	v_lshlrev_b64_e32 v[4:5], 3, v[4:5]
	s_delay_alu instid0(VALU_DEP_3) | instskip(NEXT) | instid1(VALU_DEP_3)
	v_lshlrev_b64_e32 v[6:7], 3, v[7:8]
	v_add_co_u32 v0, s2, v18, v2
	s_wait_alu 0xf1ff
	s_delay_alu instid0(VALU_DEP_4) | instskip(SKIP_1) | instid1(VALU_DEP_2)
	v_add_co_ci_u32_e64 v1, s2, v19, v3, s2
	s_wait_alu 0xfffe
	v_add_co_u32 v2, s2, v0, s4
	s_wait_alu 0xf1ff
	s_delay_alu instid0(VALU_DEP_2) | instskip(SKIP_4) | instid1(VALU_DEP_2)
	v_add_co_ci_u32_e64 v3, s2, s5, v1, s2
	global_load_b64 v[0:1], v[0:1], off
	v_add_co_u32 v14, s2, v2, s4
	s_wait_alu 0xf1ff
	v_add_co_ci_u32_e64 v15, s2, s5, v3, s2
	v_add_co_u32 v8, s2, v14, s4
	s_wait_alu 0xf1ff
	s_delay_alu instid0(VALU_DEP_2)
	v_add_co_ci_u32_e64 v9, s2, s5, v15, s2
	v_add_co_u32 v4, s2, v18, v4
	s_wait_alu 0xf1ff
	v_add_co_ci_u32_e64 v5, s2, v19, v5, s2
	v_add_co_u32 v16, s2, v8, s4
	s_wait_alu 0xf1ff
	v_add_co_ci_u32_e64 v17, s2, s5, v9, s2
	global_load_b64 v[4:5], v[4:5], off
	v_add_co_u32 v6, s2, v18, v6
	s_wait_alu 0xf1ff
	v_add_co_ci_u32_e64 v7, s2, v19, v7, s2
	v_add_co_u32 v18, s2, v16, s4
	s_wait_alu 0xf1ff
	v_add_co_ci_u32_e64 v19, s2, s5, v17, s2
	global_load_b64 v[24:25], v94, s[12:13] offset:3584
	s_clause 0x1
	global_load_b64 v[6:7], v[6:7], off
	global_load_b64 v[2:3], v[2:3], off
	s_clause 0x2
	global_load_b64 v[28:29], v94, s[12:13] offset:224
	global_load_b64 v[30:31], v94, s[12:13] offset:448
	;; [unrolled: 1-line block ×3, first 2 shown]
	s_clause 0x1
	global_load_b64 v[14:15], v[14:15], off
	global_load_b64 v[8:9], v[8:9], off
	s_clause 0x3
	global_load_b64 v[34:35], v94, s[12:13] offset:896
	global_load_b64 v[36:37], v94, s[12:13] offset:1120
	;; [unrolled: 1-line block ×4, first 2 shown]
	global_load_b64 v[16:17], v[16:17], off
	v_add_co_u32 v20, s2, v18, s4
	s_wait_alu 0xf1ff
	v_add_co_ci_u32_e64 v21, s2, s5, v19, s2
	s_delay_alu instid0(VALU_DEP_2) | instskip(SKIP_1) | instid1(VALU_DEP_2)
	v_add_co_u32 v22, s2, v20, s4
	s_wait_alu 0xf1ff
	v_add_co_ci_u32_e64 v23, s2, s5, v21, s2
	s_clause 0x2
	global_load_b64 v[45:46], v94, s[12:13] offset:2016
	global_load_b64 v[47:48], v94, s[12:13] offset:2240
	;; [unrolled: 1-line block ×3, first 2 shown]
	global_load_b64 v[18:19], v[18:19], off
	s_clause 0x1
	global_load_b64 v[51:52], v94, s[12:13] offset:2688
	global_load_b64 v[53:54], v94, s[12:13] offset:2912
	global_load_b64 v[20:21], v[20:21], off
	v_mad_co_u64_u32 v[26:27], null, 0x1c0, s8, v[22:23]
	global_load_b64 v[22:23], v[22:23], off
	s_wait_loadcnt 0x16
	v_mul_f32_e32 v69, v1, v11
	v_mul_f32_e32 v70, v0, v11
	s_delay_alu instid0(VALU_DEP_1)
	v_fma_f32 v70, v1, v10, -v70
	s_wait_loadcnt 0x15
	v_mul_f32_e32 v11, v5, v13
	s_wait_loadcnt 0x11
	v_mad_co_u64_u32 v[42:43], null, 0x1c0, s9, v[27:28]
	v_mul_f32_e32 v75, v4, v13
	v_mul_f32_e32 v13, v7, v25
	s_delay_alu instid0(VALU_DEP_3) | instskip(SKIP_2) | instid1(VALU_DEP_4)
	v_mov_b32_e32 v27, v42
	v_add_co_u32 v42, s2, v26, s4
	v_mul_f32_e32 v25, v6, v25
	v_fmac_f32_e32 v13, v6, v24
	s_wait_alu 0xf1ff
	v_add_co_ci_u32_e64 v43, s2, s5, v27, s2
	v_add_co_u32 v55, s2, v42, s4
	global_load_b64 v[26:27], v[26:27], off
	s_wait_alu 0xf1ff
	v_add_co_ci_u32_e64 v56, s2, s5, v43, s2
	v_add_co_u32 v57, s2, v55, s4
	global_load_b64 v[42:43], v[42:43], off
	;; [unrolled: 4-line block ×5, first 2 shown]
	s_wait_alu 0xf1ff
	v_add_co_ci_u32_e64 v64, s2, s5, v62, s2
	global_load_b64 v[61:62], v[61:62], off
	s_clause 0x1
	global_load_b64 v[65:66], v94, s[12:13] offset:3136
	global_load_b64 v[67:68], v94, s[12:13] offset:3360
	global_load_b64 v[63:64], v[63:64], off
	s_wait_loadcnt 0x16
	v_mul_f32_e32 v6, v8, v33
	v_dual_fmac_f32 v69, v0, v10 :: v_dual_mul_f32 v0, v3, v29
	v_add_nc_u32_e32 v73, 0x400, v71
	v_mul_f32_e32 v1, v2, v29
	s_wait_loadcnt 0x9
	v_mul_f32_e32 v10, v22, v41
	v_fmac_f32_e32 v0, v2, v28
	v_dual_mul_f32 v2, v15, v31 :: v_dual_fmac_f32 v11, v4, v12
	v_fma_f32 v1, v3, v28, -v1
	v_mul_f32_e32 v4, v9, v33
	ds_store_b64 v72, v[69:70]
	v_fmac_f32_e32 v2, v14, v30
	v_fma_f32 v12, v5, v12, -v75
	v_mul_f32_e32 v5, v14, v31
	v_mul_f32_e32 v14, v17, v35
	v_fmac_f32_e32 v4, v8, v32
	v_mul_f32_e32 v8, v19, v37
	s_delay_alu instid0(VALU_DEP_4)
	v_fma_f32 v3, v15, v30, -v5
	v_fma_f32 v5, v9, v32, -v6
	v_mul_f32_e32 v6, v16, v35
	v_dual_fmac_f32 v14, v16, v34 :: v_dual_mul_f32 v9, v18, v37
	v_mul_f32_e32 v16, v21, v39
	v_fmac_f32_e32 v8, v18, v36
	s_delay_alu instid0(VALU_DEP_4)
	v_fma_f32 v15, v17, v34, -v6
	v_mul_f32_e32 v6, v20, v39
	v_fma_f32 v9, v19, v36, -v9
	v_fmac_f32_e32 v16, v20, v38
	v_mul_f32_e32 v18, v23, v41
	ds_store_2addr_b64 v71, v[0:1], v[2:3] offset0:28 offset1:56
	ds_store_2addr_b64 v71, v[4:5], v[14:15] offset0:84 offset1:112
	s_wait_loadcnt 0x8
	v_mul_f32_e32 v1, v26, v46
	v_fma_f32 v17, v21, v38, -v6
	s_wait_loadcnt 0x7
	v_dual_mul_f32 v0, v27, v46 :: v_dual_mul_f32 v3, v42, v48
	v_mul_f32_e32 v2, v43, v48
	v_fma_f32 v1, v27, v45, -v1
	s_wait_loadcnt 0x6
	v_mul_f32_e32 v5, v55, v50
	ds_store_2addr_b64 v71, v[8:9], v[16:17] offset0:140 offset1:168
	v_mul_f32_e32 v4, v56, v50
	v_fma_f32 v3, v43, v47, -v3
	s_wait_loadcnt 0x5
	v_mul_f32_e32 v6, v57, v52
	v_mul_f32_e32 v8, v58, v52
	v_fmac_f32_e32 v4, v55, v49
	v_fma_f32 v5, v56, v49, -v5
	s_delay_alu instid0(VALU_DEP_4)
	v_fma_f32 v9, v58, v51, -v6
	s_wait_loadcnt 0x2
	v_mul_f32_e32 v15, v62, v66
	v_fmac_f32_e32 v18, v22, v40
	s_wait_loadcnt 0x0
	v_mul_f32_e32 v17, v64, v68
	v_fma_f32 v19, v23, v40, -v10
	v_dual_mul_f32 v10, v60, v54 :: v_dual_fmac_f32 v15, v61, v65
	v_mul_f32_e32 v6, v59, v54
	v_mul_f32_e32 v14, v63, v68
	ds_store_2addr_b64 v71, v[18:19], v[11:12] offset0:196 offset1:224
	v_mul_f32_e32 v12, v61, v66
	v_dual_fmac_f32 v0, v26, v45 :: v_dual_fmac_f32 v17, v63, v67
	v_fmac_f32_e32 v2, v42, v47
	v_fmac_f32_e32 v8, v57, v51
	;; [unrolled: 1-line block ×3, first 2 shown]
	v_fma_f32 v11, v60, v53, -v6
	v_fma_f32 v16, v62, v65, -v12
	;; [unrolled: 1-line block ×4, first 2 shown]
	ds_store_2addr_b64 v73, v[0:1], v[2:3] offset0:124 offset1:152
	ds_store_2addr_b64 v74, v[4:5], v[8:9] offset0:52 offset1:80
	;; [unrolled: 1-line block ×4, first 2 shown]
.LBB0_3:
	s_or_b32 exec_lo, exec_lo, s3
	s_clause 0x1
	s_load_b64 s[4:5], s[0:1], 0x20
	s_load_b64 s[2:3], s[0:1], 0x8
	v_mov_b32_e32 v4, 0
	v_mov_b32_e32 v5, 0
	global_wb scope:SCOPE_SE
	s_wait_dscnt 0x0
	s_wait_kmcnt 0x0
	s_barrier_signal -1
	s_barrier_wait -1
	global_inv scope:SCOPE_SE
                                        ; implicit-def: $vgpr14
                                        ; implicit-def: $vgpr8
                                        ; implicit-def: $vgpr36
                                        ; implicit-def: $vgpr18
                                        ; implicit-def: $vgpr22
                                        ; implicit-def: $vgpr26
                                        ; implicit-def: $vgpr30
                                        ; implicit-def: $vgpr34
	s_and_saveexec_b32 s0, vcc_lo
	s_cbranch_execz .LBB0_5
; %bb.4:
	v_lshl_add_u32 v0, v96, 3, v94
	s_delay_alu instid0(VALU_DEP_1)
	v_add_nc_u32_e32 v1, 0x800, v0
	ds_load_2addr_b64 v[4:7], v0 offset1:28
	ds_load_2addr_b64 v[32:35], v0 offset0:56 offset1:84
	ds_load_2addr_b64 v[28:31], v0 offset0:112 offset1:140
	;; [unrolled: 1-line block ×7, first 2 shown]
	ds_load_b64 v[36:37], v0 offset:3584
.LBB0_5:
	s_wait_alu 0xfffe
	s_or_b32 exec_lo, exec_lo, s0
	s_wait_dscnt 0x0
	v_dual_sub_f32 v106, v7, v37 :: v_dual_sub_f32 v113, v6, v36
	v_dual_add_f32 v53, v36, v6 :: v_dual_add_f32 v54, v37, v7
	v_dual_add_f32 v56, v11, v33 :: v_dual_add_f32 v57, v8, v34
	s_delay_alu instid0(VALU_DEP_3) | instskip(NEXT) | instid1(VALU_DEP_4)
	v_dual_mul_f32 v66, 0xbeb8f4ab, v113 :: v_dual_add_f32 v55, v10, v32
	v_dual_mul_f32 v90, 0xbf65296c, v106 :: v_dual_sub_f32 v123, v34, v8
	v_sub_f32_e32 v116, v32, v10
	v_mul_f32_e32 v80, 0xbf2c7751, v113
	s_delay_alu instid0(VALU_DEP_4) | instskip(SKIP_1) | instid1(VALU_DEP_4)
	v_fma_f32 v1, 0x3f6eb680, v54, -v66
	v_dual_sub_f32 v114, v35, v9 :: v_dual_sub_f32 v117, v29, v15
	v_dual_mul_f32 v65, 0xbf2c7751, v116 :: v_dual_add_f32 v58, v9, v35
	v_dual_mul_f32 v88, 0xbf4c4adb, v123 :: v_dual_add_f32 v61, v12, v30
	s_delay_alu instid0(VALU_DEP_4)
	v_dual_mul_f32 v62, 0xbeb8f4ab, v106 :: v_dual_add_f32 v1, v1, v5
	v_fma_f32 v3, 0x3f3d2fb0, v54, -v80
	v_mul_f32_e32 v76, 0xbf2c7751, v106
	v_sub_f32_e32 v110, v33, v11
	v_fma_f32 v40, 0x3f3d2fb0, v56, -v65
	v_mul_f32_e32 v73, 0xbf7ee86f, v117
	v_fma_f32 v43, 0xbf1a4643, v58, -v88
	v_mul_f32_e32 v86, 0xbf7ee86f, v116
	s_delay_alu instid0(VALU_DEP_4) | instskip(SKIP_1) | instid1(VALU_DEP_3)
	v_dual_fmamk_f32 v0, v53, 0x3f6eb680, v62 :: v_dual_add_f32 v1, v40, v1
	v_dual_add_f32 v3, v3, v5 :: v_dual_mul_f32 v64, 0xbf2c7751, v110
	v_fma_f32 v42, 0x3dbcf732, v56, -v86
	v_fmamk_f32 v2, v53, 0x3f3d2fb0, v76
	v_dual_fmamk_f32 v38, v53, 0x3ee437d1, v90 :: v_dual_sub_f32 v127, v28, v14
	s_delay_alu instid0(VALU_DEP_4) | instskip(SKIP_4) | instid1(VALU_DEP_4)
	v_fmamk_f32 v39, v55, 0x3f3d2fb0, v64
	v_mul_f32_e32 v79, 0xbf7ee86f, v110
	v_add_f32_e32 v3, v42, v3
	v_add_f32_e32 v2, v2, v4
	v_dual_add_f32 v38, v38, v4 :: v_dual_mul_f32 v69, 0xbf65296c, v123
	v_fmamk_f32 v41, v55, 0x3dbcf732, v79
	v_dual_mul_f32 v102, 0xbf4c4adb, v110 :: v_dual_add_f32 v59, v14, v28
	v_dual_add_f32 v60, v15, v29 :: v_dual_mul_f32 v91, 0xbe3c28d5, v127
	s_delay_alu instid0(VALU_DEP_3) | instskip(SKIP_4) | instid1(VALU_DEP_4)
	v_add_f32_e32 v2, v41, v2
	v_fma_f32 v41, 0x3ee437d1, v58, -v69
	v_mul_f32_e32 v74, 0xbf7ee86f, v127
	v_dual_add_f32 v0, v0, v4 :: v_dual_mul_f32 v103, 0xbf65296c, v113
	v_dual_sub_f32 v122, v27, v17 :: v_dual_mul_f32 v137, 0x3e3c28d5, v123
	v_add_f32_e32 v1, v41, v1
	s_delay_alu instid0(VALU_DEP_4)
	v_fma_f32 v41, 0x3dbcf732, v60, -v74
	v_mul_f32_e32 v68, 0xbf65296c, v114
	v_dual_add_f32 v0, v39, v0 :: v_dual_mul_f32 v85, 0xbf4c4adb, v114
	v_add_f32_e32 v3, v43, v3
	v_fma_f32 v43, 0xbf7ba420, v60, -v91
	v_add_f32_e32 v1, v41, v1
	v_fmamk_f32 v40, v57, 0x3ee437d1, v68
	v_dual_sub_f32 v132, v26, v16 :: v_dual_mul_f32 v129, 0xbf7ee86f, v122
	v_dual_sub_f32 v126, v25, v19 :: v_dual_fmamk_f32 v39, v55, 0xbf1a4643, v102
	v_dual_mul_f32 v108, 0x3e3c28d5, v114 :: v_dual_add_f32 v63, v13, v31
	s_delay_alu instid0(VALU_DEP_4)
	v_dual_add_f32 v3, v43, v3 :: v_dual_add_f32 v0, v40, v0
	v_dual_fmamk_f32 v40, v59, 0x3dbcf732, v73 :: v_dual_add_f32 v67, v18, v24
	v_dual_mul_f32 v87, 0xbf06c442, v132 :: v_dual_add_f32 v70, v19, v25
	v_mul_f32_e32 v119, 0xbeb8f4ab, v126
	v_sub_f32_e32 v130, v24, v18
	v_dual_add_f32 v38, v39, v38 :: v_dual_mul_f32 v89, 0xbe3c28d5, v117
	v_dual_fmamk_f32 v39, v57, 0xbf7ba420, v108 :: v_dual_sub_f32 v128, v30, v12
	s_delay_alu instid0(VALU_DEP_3) | instskip(SKIP_1) | instid1(VALU_DEP_3)
	v_dual_mul_f32 v81, 0xbf4c4adb, v130 :: v_dual_sub_f32 v124, v31, v13
	v_dual_mul_f32 v111, 0x3f763a35, v117 :: v_dual_add_f32 v0, v40, v0
	v_dual_mul_f32 v77, 0xbf763a35, v128 :: v_dual_add_f32 v38, v39, v38
	s_delay_alu instid0(VALU_DEP_3) | instskip(SKIP_2) | instid1(VALU_DEP_4)
	v_mul_f32_e32 v75, 0xbf763a35, v124
	v_mul_f32_e32 v99, 0x3f06c442, v128
	v_add_f32_e32 v71, v16, v26
	v_fma_f32 v41, 0xbe8c1d8e, v63, -v77
	v_add_f32_e32 v72, v17, v27
	v_fmamk_f32 v40, v61, 0xbe8c1d8e, v75
	v_fma_f32 v43, 0xbf59a7d5, v63, -v99
	v_fmamk_f32 v42, v57, 0xbf1a4643, v85
	v_add_f32_e32 v1, v41, v1
	v_fma_f32 v41, 0xbf1a4643, v70, -v81
	v_fmamk_f32 v39, v59, 0xbe8c1d8e, v111
	s_delay_alu instid0(VALU_DEP_4) | instskip(NEXT) | instid1(VALU_DEP_3)
	v_dual_add_f32 v3, v43, v3 :: v_dual_add_f32 v2, v42, v2
	v_dual_fmamk_f32 v42, v59, 0xbf7ba420, v89 :: v_dual_add_f32 v1, v41, v1
	v_fma_f32 v41, 0xbf59a7d5, v72, -v87
	v_mul_f32_e32 v78, 0xbf4c4adb, v126
	v_dual_add_f32 v0, v40, v0 :: v_dual_mul_f32 v105, 0x3f763a35, v130
	v_dual_mul_f32 v84, 0xbf06c442, v122 :: v_dual_add_f32 v83, v23, v21
	s_delay_alu instid0(VALU_DEP_3) | instskip(NEXT) | instid1(VALU_DEP_3)
	v_dual_add_f32 v1, v41, v1 :: v_dual_fmamk_f32 v40, v67, 0xbf1a4643, v78
	v_fma_f32 v43, 0xbe8c1d8e, v70, -v105
	v_mul_f32_e32 v92, 0x3f06c442, v124
	v_add_f32_e32 v82, v22, v20
	v_sub_f32_e32 v120, v20, v22
	v_dual_add_f32 v0, v40, v0 :: v_dual_mul_f32 v107, 0x3f65296c, v122
	v_fmamk_f32 v40, v71, 0xbf59a7d5, v84
	v_dual_add_f32 v2, v42, v2 :: v_dual_mul_f32 v115, 0x3f2c7751, v124
	v_add_f32_e32 v3, v43, v3
	v_dual_sub_f32 v118, v21, v23 :: v_dual_mul_f32 v121, 0x3eb8f4ab, v120
	s_delay_alu instid0(VALU_DEP_4)
	v_add_f32_e32 v0, v40, v0
	v_fma_f32 v40, 0x3ee437d1, v54, -v103
	v_fmamk_f32 v42, v61, 0xbf59a7d5, v92
	v_add_f32_e32 v38, v39, v38
	v_mul_f32_e32 v100, 0x3f763a35, v126
	v_fmamk_f32 v39, v61, 0x3f3d2fb0, v115
	s_delay_alu instid0(VALU_DEP_4) | instskip(SKIP_1) | instid1(VALU_DEP_4)
	v_dual_mul_f32 v109, 0x3f65296c, v132 :: v_dual_add_f32 v2, v42, v2
	v_mul_f32_e32 v138, 0xbf4c4adb, v116
	v_fmamk_f32 v42, v67, 0xbe8c1d8e, v100
	s_delay_alu instid0(VALU_DEP_4) | instskip(SKIP_2) | instid1(VALU_DEP_4)
	v_add_f32_e32 v38, v39, v38
	v_fmamk_f32 v39, v67, 0x3f6eb680, v119
	v_mul_f32_e32 v136, 0x3f763a35, v127
	v_dual_fmamk_f32 v41, v71, 0x3dbcf732, v129 :: v_dual_add_f32 v2, v42, v2
	v_fma_f32 v42, 0x3ee437d1, v72, -v109
	s_delay_alu instid0(VALU_DEP_4)
	v_add_f32_e32 v38, v39, v38
	v_fmamk_f32 v39, v71, 0x3ee437d1, v107
	v_mul_f32_e32 v135, 0x3f2c7751, v128
	v_mul_f32_e32 v101, 0xbe3c28d5, v118
	v_add_f32_e32 v3, v42, v3
	v_fma_f32 v47, 0x3f6eb680, v83, -v121
	v_dual_add_f32 v2, v39, v2 :: v_dual_add_f32 v39, v40, v5
	v_fma_f32 v40, 0xbf1a4643, v56, -v138
	s_delay_alu instid0(VALU_DEP_3)
	v_dual_mul_f32 v134, 0xbeb8f4ab, v130 :: v_dual_add_f32 v3, v47, v3
	v_mul_f32_e32 v133, 0xbf7ee86f, v132
	global_wb scope:SCOPE_SE
	v_add_f32_e32 v39, v40, v39
	v_fma_f32 v40, 0xbf7ba420, v58, -v137
	s_barrier_signal -1
	s_barrier_wait -1
	global_inv scope:SCOPE_SE
	v_add_f32_e32 v39, v40, v39
	v_fma_f32 v40, 0xbe8c1d8e, v60, -v136
	s_delay_alu instid0(VALU_DEP_1) | instskip(SKIP_1) | instid1(VALU_DEP_1)
	v_dual_add_f32 v38, v41, v38 :: v_dual_add_f32 v39, v40, v39
	v_fma_f32 v40, 0x3f3d2fb0, v63, -v135
	v_add_f32_e32 v39, v40, v39
	v_fmamk_f32 v41, v82, 0xbf7ba420, v101
	v_fma_f32 v40, 0x3f6eb680, v70, -v134
	v_mul_f32_e32 v104, 0xbe3c28d5, v120
	s_delay_alu instid0(VALU_DEP_3) | instskip(NEXT) | instid1(VALU_DEP_3)
	v_add_f32_e32 v45, v41, v0
	v_add_f32_e32 v39, v40, v39
	s_delay_alu instid0(VALU_DEP_3) | instskip(SKIP_3) | instid1(VALU_DEP_2)
	v_fma_f32 v42, 0xbf7ba420, v83, -v104
	v_mul_f32_e32 v125, 0xbf06c442, v118
	v_fma_f32 v40, 0x3dbcf732, v72, -v133
	v_mul_f32_e32 v112, 0x3eb8f4ab, v118
	v_dual_add_f32 v46, v42, v1 :: v_dual_add_f32 v39, v40, v39
	s_delay_alu instid0(VALU_DEP_4) | instskip(NEXT) | instid1(VALU_DEP_1)
	v_fmamk_f32 v0, v82, 0xbf59a7d5, v125
	v_dual_fmamk_f32 v43, v82, 0x3f6eb680, v112 :: v_dual_add_f32 v0, v0, v38
	s_delay_alu instid0(VALU_DEP_1) | instskip(NEXT) | instid1(VALU_DEP_1)
	v_dual_mul_f32 v131, 0xbf06c442, v120 :: v_dual_add_f32 v2, v43, v2
	v_fma_f32 v40, 0xbf59a7d5, v83, -v131
	s_delay_alu instid0(VALU_DEP_1)
	v_add_f32_e32 v1, v40, v39
	s_and_saveexec_b32 s0, vcc_lo
	s_cbranch_execz .LBB0_7
; %bb.6:
	v_mul_f32_e32 v147, 0xbf763a35, v106
	v_mul_f32_e32 v148, 0xbe8c1d8e, v54
	;; [unrolled: 1-line block ×5, first 2 shown]
	v_fmamk_f32 v39, v53, 0xbe8c1d8e, v147
	v_fmamk_f32 v38, v113, 0x3f763a35, v148
	v_fmamk_f32 v41, v55, 0xbf59a7d5, v149
	v_fmamk_f32 v40, v116, 0xbf06c442, v140
	v_mul_f32_e32 v145, 0x3dbcf732, v70
	v_add_f32_e32 v39, v39, v4
	v_mul_f32_e32 v142, 0x3ee437d1, v60
	v_add_f32_e32 v38, v38, v5
	v_mul_f32_e32 v153, 0xbf65296c, v117
	s_delay_alu instid0(VALU_DEP_4) | instskip(SKIP_4) | instid1(VALU_DEP_4)
	v_dual_mul_f32 v52, 0xbf4c4adb, v106 :: v_dual_add_f32 v39, v41, v39
	v_mul_f32_e32 v150, 0x3f2c7751, v114
	v_mul_f32_e32 v143, 0x3f3d2fb0, v58
	v_add_f32_e32 v38, v40, v38
	v_dual_mul_f32 v144, 0x3f6eb680, v72 :: v_dual_mul_f32 v157, 0x3f6eb680, v58
	v_fmamk_f32 v40, v57, 0x3f3d2fb0, v150
	s_delay_alu instid0(VALU_DEP_4) | instskip(SKIP_2) | instid1(VALU_DEP_4)
	v_fmamk_f32 v42, v123, 0xbf2c7751, v143
	v_fmamk_f32 v41, v127, 0x3f65296c, v142
	v_mul_f32_e32 v51, 0xbf1a4643, v54
	v_dual_mul_f32 v156, 0x3f763a35, v110 :: v_dual_add_f32 v39, v40, v39
	s_delay_alu instid0(VALU_DEP_4) | instskip(SKIP_2) | instid1(VALU_DEP_3)
	v_dual_add_f32 v38, v42, v38 :: v_dual_mul_f32 v151, 0xbe3c28d5, v124
	v_dual_mul_f32 v158, 0xbeb8f4ab, v114 :: v_dual_mul_f32 v177, 0xbeb8f4ab, v124
	v_mul_f32_e32 v160, 0xbf06c442, v117
	v_add_f32_e32 v38, v41, v38
	s_delay_alu instid0(VALU_DEP_4) | instskip(SKIP_3) | instid1(VALU_DEP_4)
	v_dual_mul_f32 v154, 0xbf7ba420, v63 :: v_dual_fmamk_f32 v41, v61, 0xbf7ba420, v151
	v_mul_f32_e32 v165, 0xbf7ba420, v72
	v_mul_f32_e32 v162, 0x3f7ee86f, v124
	;; [unrolled: 1-line block ×3, first 2 shown]
	v_fmamk_f32 v40, v128, 0x3e3c28d5, v154
	v_mul_f32_e32 v181, 0x3f3d2fb0, v72
	v_mul_f32_e32 v139, 0xbf1a4643, v83
	v_fmamk_f32 v48, v132, 0x3e3c28d5, v165
	v_mul_f32_e32 v164, 0xbf2c7751, v126
	v_add_f32_e32 v38, v40, v38
	v_fmamk_f32 v40, v67, 0x3dbcf732, v146
	v_fmamk_f32 v42, v59, 0x3ee437d1, v153
	v_mul_f32_e32 v166, 0xbe3c28d5, v122
	v_mul_f32_e32 v50, 0xbf06c442, v106
	;; [unrolled: 1-line block ×4, first 2 shown]
	v_add_f32_e32 v39, v42, v39
	v_fmamk_f32 v42, v130, 0xbf7ee86f, v145
	v_mul_f32_e32 v168, 0x3f65296c, v118
	v_fmamk_f32 v172, v55, 0x3ee437d1, v170
	v_mul_f32_e32 v49, 0xbf59a7d5, v54
	s_delay_alu instid0(VALU_DEP_4)
	v_dual_fmamk_f32 v47, v55, 0xbe8c1d8e, v156 :: v_dual_add_f32 v38, v42, v38
	v_fmamk_f32 v42, v53, 0xbf1a4643, v52
	v_add_f32_e32 v39, v41, v39
	v_fmamk_f32 v41, v132, 0x3eb8f4ab, v144
	v_mul_f32_e32 v183, 0xbf763a35, v118
	v_dual_mul_f32 v174, 0xbf1a4643, v60 :: v_dual_mul_f32 v193, 0xbf1a4643, v63
	v_add_f32_e32 v42, v42, v4
	v_mul_f32_e32 v159, 0xbf59a7d5, v60
	v_dual_add_f32 v39, v40, v39 :: v_dual_add_f32 v38, v41, v38
	s_delay_alu instid0(VALU_DEP_3)
	v_dual_fmamk_f32 v41, v120, 0x3f4c4adb, v139 :: v_dual_add_f32 v42, v47, v42
	v_fmamk_f32 v47, v57, 0x3f6eb680, v158
	v_mul_f32_e32 v161, 0x3dbcf732, v63
	v_fmamk_f32 v185, v82, 0xbe8c1d8e, v183
	v_mul_f32_e32 v173, 0xbf7ee86f, v114
	v_mul_f32_e32 v171, 0x3dbcf732, v58
	v_add_f32_e32 v42, v47, v42
	v_fmamk_f32 v47, v59, 0xbf59a7d5, v160
	v_mul_f32_e32 v194, 0x3f2c7751, v117
	v_mul_f32_e32 v176, 0x3f6eb680, v63
	;; [unrolled: 1-line block ×4, first 2 shown]
	v_dual_add_f32 v42, v47, v42 :: v_dual_fmamk_f32 v47, v61, 0x3dbcf732, v162
	v_mul_f32_e32 v178, 0xbf7ba420, v70
	v_fmamk_f32 v196, v59, 0x3f3d2fb0, v194
	v_mul_f32_e32 v195, 0x3ee437d1, v70
	s_delay_alu instid0(VALU_DEP_4)
	v_dual_mul_f32 v169, 0x3ee437d1, v56 :: v_dual_add_f32 v42, v47, v42
	v_fmamk_f32 v47, v67, 0x3f3d2fb0, v164
	v_mul_f32_e32 v167, 0x3ee437d1, v83
	v_fmamk_f32 v180, v130, 0x3e3c28d5, v178
	v_fmac_f32_e32 v178, 0xbe3c28d5, v130
	v_fma_f32 v147, 0xbe8c1d8e, v53, -v147
	v_add_f32_e32 v42, v47, v42
	v_fmamk_f32 v47, v71, 0xbf7ba420, v166
	v_fmac_f32_e32 v148, 0xbf763a35, v113
	v_mul_f32_e32 v175, 0x3f4c4adb, v117
	v_add_f32_e32 v147, v147, v4
	s_delay_alu instid0(VALU_DEP_4)
	v_dual_fmac_f32 v143, 0x3f2c7751, v123 :: v_dual_add_f32 v42, v47, v42
	v_fmamk_f32 v47, v53, 0xbf59a7d5, v50
	v_mul_f32_e32 v152, 0xbeb8f4ab, v122
	v_add_f32_e32 v148, v148, v5
	v_fmac_f32_e32 v154, 0xbe3c28d5, v128
	v_mul_f32_e32 v197, 0xbf4c4adb, v124
	v_add_f32_e32 v47, v47, v4
	v_fmamk_f32 v40, v71, 0x3f6eb680, v152
	v_mul_f32_e32 v124, 0xbf65296c, v124
	v_fmac_f32_e32 v165, 0xbe3c28d5, v132
	v_fmac_f32_e32 v145, 0x3f7ee86f, v130
	v_add_f32_e32 v47, v172, v47
	v_dual_add_f32 v40, v40, v39 :: v_dual_add_f32 v39, v41, v38
	v_fmamk_f32 v38, v113, 0x3f4c4adb, v51
	v_mul_f32_e32 v141, 0xbf4c4adb, v118
	v_fmamk_f32 v172, v57, 0x3dbcf732, v173
	v_fmac_f32_e32 v51, 0xbf4c4adb, v113
	v_fma_f32 v149, 0xbf59a7d5, v55, -v149
	v_dual_add_f32 v38, v38, v5 :: v_dual_mul_f32 v155, 0xbe8c1d8e, v56
	s_delay_alu instid0(VALU_DEP_4) | instskip(SKIP_2) | instid1(VALU_DEP_4)
	v_dual_add_f32 v47, v172, v47 :: v_dual_fmamk_f32 v172, v59, 0xbf1a4643, v175
	v_fma_f32 v52, 0xbf1a4643, v53, -v52
	v_add_f32_e32 v51, v51, v5
	v_fmamk_f32 v43, v116, 0xbf763a35, v155
	s_delay_alu instid0(VALU_DEP_4) | instskip(SKIP_2) | instid1(VALU_DEP_4)
	v_dual_fmac_f32 v140, 0x3f06c442, v116 :: v_dual_add_f32 v47, v172, v47
	v_fmamk_f32 v172, v61, 0x3f6eb680, v177
	v_add_f32_e32 v52, v52, v4
	v_add_f32_e32 v38, v43, v38
	v_fmamk_f32 v43, v123, 0x3eb8f4ab, v157
	v_fmamk_f32 v41, v82, 0xbf1a4643, v141
	v_dual_add_f32 v47, v172, v47 :: v_dual_fmamk_f32 v172, v67, 0xbf7ba420, v179
	v_fma_f32 v156, 0xbe8c1d8e, v55, -v156
	s_delay_alu instid0(VALU_DEP_4) | instskip(SKIP_3) | instid1(VALU_DEP_3)
	v_add_f32_e32 v38, v43, v38
	v_fmamk_f32 v43, v127, 0x3f06c442, v159
	v_fmac_f32_e32 v159, 0xbf06c442, v127
	v_dual_add_f32 v47, v172, v47 :: v_dual_mul_f32 v172, 0xbf7ba420, v54
	v_dual_fmac_f32 v157, 0xbeb8f4ab, v123 :: v_dual_add_f32 v38, v43, v38
	v_fmamk_f32 v43, v128, 0xbf7ee86f, v161
	v_fmac_f32_e32 v155, 0x3f763a35, v116
	v_fmac_f32_e32 v161, 0x3f7ee86f, v128
	v_add_f32_e32 v140, v140, v148
	v_fma_f32 v141, 0xbf1a4643, v82, -v141
	v_dual_add_f32 v38, v43, v38 :: v_dual_fmamk_f32 v43, v130, 0x3f2c7751, v163
	v_add_f32_e32 v51, v155, v51
	v_fma_f32 v155, 0x3f6eb680, v57, -v158
	v_dual_add_f32 v140, v143, v140 :: v_dual_add_f32 v143, v149, v147
	s_delay_alu instid0(VALU_DEP_4) | instskip(NEXT) | instid1(VALU_DEP_4)
	v_dual_add_f32 v43, v43, v38 :: v_dual_add_f32 v38, v41, v40
	v_add_f32_e32 v51, v157, v51
	v_fma_f32 v157, 0xbf59a7d5, v59, -v160
	v_fma_f32 v147, 0x3f3d2fb0, v57, -v150
	s_delay_alu instid0(VALU_DEP_4)
	v_dual_add_f32 v40, v48, v43 :: v_dual_fmamk_f32 v43, v82, 0x3ee437d1, v168
	v_fmamk_f32 v41, v120, 0xbf65296c, v167
	v_fmamk_f32 v48, v116, 0xbf65296c, v169
	v_fmac_f32_e32 v169, 0x3f65296c, v116
	v_add_f32_e32 v159, v159, v51
	v_fmac_f32_e32 v167, 0x3f65296c, v120
	v_add_f32_e32 v41, v41, v40
	v_dual_fmamk_f32 v40, v113, 0x3f06c442, v49 :: v_dual_add_f32 v147, v147, v143
	v_fma_f32 v149, 0x3ee437d1, v59, -v153
	v_mul_f32_e32 v150, 0xbf7ee86f, v113
	v_fma_f32 v146, 0x3dbcf732, v67, -v146
	s_delay_alu instid0(VALU_DEP_4) | instskip(SKIP_1) | instid1(VALU_DEP_2)
	v_add_f32_e32 v40, v40, v5
	v_mul_f32_e32 v117, 0x3eb8f4ab, v117
	v_dual_add_f32 v7, v7, v5 :: v_dual_add_f32 v40, v48, v40
	v_fmamk_f32 v48, v123, 0x3f7ee86f, v171
	v_fmac_f32_e32 v171, 0xbf7ee86f, v123
	s_delay_alu instid0(VALU_DEP_2) | instskip(SKIP_3) | instid1(VALU_DEP_3)
	v_dual_add_f32 v7, v33, v7 :: v_dual_add_f32 v40, v48, v40
	v_fmamk_f32 v48, v127, 0xbf4c4adb, v174
	v_dual_add_f32 v52, v156, v52 :: v_dual_fmac_f32 v163, 0xbf2c7751, v130
	v_fmac_f32_e32 v174, 0x3f4c4adb, v127
	v_dual_add_f32 v7, v35, v7 :: v_dual_add_f32 v40, v48, v40
	s_delay_alu instid0(VALU_DEP_3) | instskip(NEXT) | instid1(VALU_DEP_2)
	v_dual_add_f32 v155, v155, v52 :: v_dual_fmamk_f32 v48, v128, 0x3eb8f4ab, v176
	v_add_f32_e32 v7, v29, v7
	s_delay_alu instid0(VALU_DEP_2) | instskip(SKIP_2) | instid1(VALU_DEP_3)
	v_dual_add_f32 v155, v157, v155 :: v_dual_add_f32 v48, v48, v40
	v_dual_add_f32 v40, v43, v42 :: v_dual_fmac_f32 v49, 0xbf06c442, v113
	v_fma_f32 v157, 0x3dbcf732, v61, -v162
	v_dual_add_f32 v7, v31, v7 :: v_dual_add_f32 v42, v180, v48
	v_fmamk_f32 v48, v71, 0x3f3d2fb0, v182
	v_fmamk_f32 v43, v132, 0xbf2c7751, v181
	v_dual_mul_f32 v180, 0xbe8c1d8e, v83 :: v_dual_add_f32 v49, v49, v5
	v_fmac_f32_e32 v181, 0x3f2c7751, v132
	s_delay_alu instid0(VALU_DEP_4) | instskip(NEXT) | instid1(VALU_DEP_4)
	v_dual_add_f32 v47, v48, v47 :: v_dual_mul_f32 v48, 0x3f6eb680, v56
	v_dual_add_f32 v42, v43, v42 :: v_dual_fmamk_f32 v43, v113, 0x3e3c28d5, v172
	s_delay_alu instid0(VALU_DEP_4) | instskip(SKIP_1) | instid1(VALU_DEP_4)
	v_fmamk_f32 v184, v120, 0x3f763a35, v180
	v_fmac_f32_e32 v172, 0xbe3c28d5, v113
	v_dual_fmamk_f32 v188, v116, 0xbeb8f4ab, v48 :: v_dual_add_f32 v49, v169, v49
	s_delay_alu instid0(VALU_DEP_4) | instskip(NEXT) | instid1(VALU_DEP_4)
	v_add_f32_e32 v187, v43, v5
	v_add_f32_e32 v43, v184, v42
	v_mul_f32_e32 v184, 0x3eb8f4ab, v110
	v_add_f32_e32 v172, v172, v5
	v_dual_fmac_f32 v48, 0x3eb8f4ab, v116 :: v_dual_add_f32 v49, v171, v49
	v_mul_f32_e32 v189, 0xbf59a7d5, v58
	v_add_f32_e32 v187, v188, v187
	s_delay_alu instid0(VALU_DEP_3) | instskip(NEXT) | instid1(VALU_DEP_3)
	v_dual_fmamk_f32 v191, v55, 0x3f6eb680, v184 :: v_dual_add_f32 v48, v48, v172
	v_dual_add_f32 v49, v174, v49 :: v_dual_fmamk_f32 v188, v123, 0x3f06c442, v189
	v_fmac_f32_e32 v176, 0xbeb8f4ab, v128
	v_dual_mul_f32 v192, 0xbf06c442, v114 :: v_dual_fmac_f32 v189, 0xbf06c442, v123
	v_fma_f32 v184, 0x3f6eb680, v55, -v184
	s_delay_alu instid0(VALU_DEP_4) | instskip(SKIP_3) | instid1(VALU_DEP_4)
	v_dual_add_f32 v187, v188, v187 :: v_dual_fmamk_f32 v188, v127, 0xbf2c7751, v190
	v_fma_f32 v170, 0x3ee437d1, v55, -v170
	v_dual_add_f32 v49, v176, v49 :: v_dual_fmac_f32 v190, 0x3f2c7751, v127
	v_add_f32_e32 v189, v189, v48
	v_add_f32_e32 v187, v188, v187
	v_fmamk_f32 v188, v128, 0x3f4c4adb, v193
	v_fmac_f32_e32 v193, 0xbf4c4adb, v128
	v_mul_f32_e32 v186, 0xbe3c28d5, v106
	v_fma_f32 v50, 0xbf59a7d5, v53, -v50
	v_fma_f32 v158, 0xbe8c1d8e, v82, -v183
	v_dual_add_f32 v187, v188, v187 :: v_dual_fmamk_f32 v188, v130, 0xbf65296c, v195
	v_fmac_f32_e32 v195, 0x3f65296c, v130
	v_fmamk_f32 v42, v53, 0xbf7ba420, v186
	v_fma_f32 v172, 0xbf7ba420, v53, -v186
	s_delay_alu instid0(VALU_DEP_4) | instskip(SKIP_1) | instid1(VALU_DEP_4)
	v_dual_mul_f32 v186, 0x3f7ee86f, v118 :: v_dual_add_f32 v187, v188, v187
	v_mul_f32_e32 v188, 0xbe8c1d8e, v72
	v_add_f32_e32 v42, v42, v4
	s_delay_alu instid0(VALU_DEP_4) | instskip(SKIP_1) | instid1(VALU_DEP_4)
	v_add_f32_e32 v172, v172, v4
	v_dual_add_f32 v50, v50, v4 :: v_dual_add_f32 v155, v157, v155
	v_fmamk_f32 v198, v132, 0x3f763a35, v188
	s_delay_alu instid0(VALU_DEP_4) | instskip(NEXT) | instid1(VALU_DEP_4)
	v_dual_add_f32 v42, v191, v42 :: v_dual_fmamk_f32 v191, v57, 0xbf59a7d5, v192
	v_add_f32_e32 v172, v184, v172
	v_fma_f32 v184, 0xbf59a7d5, v57, -v192
	s_delay_alu instid0(VALU_DEP_4) | instskip(NEXT) | instid1(VALU_DEP_4)
	v_add_f32_e32 v187, v198, v187
	v_dual_mul_f32 v198, 0x3dbcf732, v83 :: v_dual_add_f32 v191, v191, v42
	v_add_f32_e32 v42, v185, v47
	s_delay_alu instid0(VALU_DEP_4) | instskip(SKIP_1) | instid1(VALU_DEP_4)
	v_dual_fmamk_f32 v185, v61, 0xbf1a4643, v197 :: v_dual_add_f32 v172, v184, v172
	v_fma_f32 v184, 0x3f3d2fb0, v59, -v194
	v_add_f32_e32 v47, v196, v191
	v_mul_f32_e32 v191, 0x3f65296c, v126
	v_mul_f32_e32 v196, 0xbf763a35, v122
	v_add_f32_e32 v50, v170, v50
	s_delay_alu instid0(VALU_DEP_4) | instskip(NEXT) | instid1(VALU_DEP_4)
	v_dual_add_f32 v172, v184, v172 :: v_dual_add_f32 v47, v185, v47
	v_fmamk_f32 v185, v67, 0x3ee437d1, v191
	v_fma_f32 v184, 0xbf1a4643, v61, -v197
	v_fma_f32 v170, 0x3dbcf732, v57, -v173
	v_fmac_f32_e32 v188, 0xbf763a35, v132
	v_fma_f32 v173, 0x3dbcf732, v82, -v186
	v_add_f32_e32 v47, v185, v47
	v_dual_fmamk_f32 v185, v71, 0xbe8c1d8e, v196 :: v_dual_add_f32 v172, v184, v172
	v_fma_f32 v184, 0x3ee437d1, v67, -v191
	v_add_f32_e32 v170, v170, v50
	v_fma_f32 v157, 0x3f3d2fb0, v67, -v164
	s_delay_alu instid0(VALU_DEP_4) | instskip(SKIP_4) | instid1(VALU_DEP_4)
	v_add_f32_e32 v47, v185, v47
	v_fmamk_f32 v185, v120, 0xbf7ee86f, v198
	v_add_f32_e32 v171, v184, v172
	v_fma_f32 v172, 0xbe8c1d8e, v71, -v196
	v_dual_fmac_f32 v180, 0xbf763a35, v120 :: v_dual_add_f32 v155, v157, v155
	v_dual_add_f32 v48, v185, v187 :: v_dual_fmamk_f32 v185, v82, 0x3dbcf732, v186
	v_add_f32_e32 v187, v190, v189
	s_delay_alu instid0(VALU_DEP_4) | instskip(SKIP_1) | instid1(VALU_DEP_4)
	v_add_f32_e32 v171, v172, v171
	v_fma_f32 v172, 0xbf1a4643, v59, -v175
	v_dual_fmac_f32 v198, 0x3f7ee86f, v120 :: v_dual_add_f32 v47, v185, v47
	s_delay_alu instid0(VALU_DEP_4) | instskip(SKIP_1) | instid1(VALU_DEP_4)
	v_add_f32_e32 v185, v193, v187
	v_fma_f32 v148, 0xbf7ba420, v71, -v166
	v_add_f32_e32 v170, v172, v170
	v_fma_f32 v172, 0x3f6eb680, v61, -v177
	v_add_f32_e32 v113, v149, v147
	s_delay_alu instid0(VALU_DEP_4) | instskip(SKIP_1) | instid1(VALU_DEP_4)
	v_dual_add_f32 v185, v195, v185 :: v_dual_add_f32 v148, v148, v155
	v_fma_f32 v147, 0xbf7ba420, v61, -v151
	v_add_f32_e32 v170, v172, v170
	s_delay_alu instid0(VALU_DEP_3) | instskip(SKIP_1) | instid1(VALU_DEP_4)
	v_dual_mul_f32 v116, 0xbe3c28d5, v116 :: v_dual_add_f32 v169, v188, v185
	v_mul_f32_e32 v123, 0x3f763a35, v123
	v_dual_add_f32 v113, v147, v113 :: v_dual_mul_f32 v128, 0xbf65296c, v128
	s_delay_alu instid0(VALU_DEP_3)
	v_dual_fmamk_f32 v147, v56, 0xbf7ba420, v116 :: v_dual_add_f32 v50, v198, v169
	v_add_f32_e32 v169, v178, v49
	v_add_f32_e32 v49, v173, v171
	v_fma_f32 v171, 0xbf7ba420, v67, -v179
	v_add_f32_e32 v113, v146, v113
	v_fma_f32 v146, 0x3f6eb680, v71, -v152
	v_dual_add_f32 v169, v181, v169 :: v_dual_mul_f32 v110, 0xbe3c28d5, v110
	s_delay_alu instid0(VALU_DEP_4) | instskip(SKIP_1) | instid1(VALU_DEP_4)
	v_add_f32_e32 v170, v171, v170
	v_fma_f32 v171, 0x3f3d2fb0, v71, -v182
	v_dual_add_f32 v113, v146, v113 :: v_dual_fmac_f32 v144, 0xbeb8f4ab, v132
	v_dual_mul_f32 v130, 0xbf06c442, v130 :: v_dual_add_f32 v7, v25, v7
	s_delay_alu instid0(VALU_DEP_3) | instskip(SKIP_1) | instid1(VALU_DEP_4)
	v_add_f32_e32 v156, v171, v170
	v_add_f32_e32 v52, v180, v169
	;; [unrolled: 1-line block ×3, first 2 shown]
	v_fma_f32 v141, 0x3f6eb680, v59, -v117
	v_dual_add_f32 v6, v6, v4 :: v_dual_add_f32 v7, v27, v7
	v_dual_add_f32 v51, v158, v156 :: v_dual_add_f32 v156, v161, v159
	v_fmac_f32_e32 v117, 0x3f6eb680, v59
	s_delay_alu instid0(VALU_DEP_2) | instskip(NEXT) | instid1(VALU_DEP_1)
	v_dual_add_f32 v7, v21, v7 :: v_dual_add_f32 v156, v163, v156
	v_dual_add_f32 v7, v23, v7 :: v_dual_add_f32 v156, v165, v156
	v_fmac_f32_e32 v142, 0xbf65296c, v127
	v_mul_f32_e32 v127, 0x3eb8f4ab, v127
	s_delay_alu instid0(VALU_DEP_2) | instskip(SKIP_1) | instid1(VALU_DEP_2)
	v_dual_add_f32 v17, v17, v7 :: v_dual_add_f32 v140, v142, v140
	v_fma_f32 v142, 0x3ee437d1, v82, -v168
	v_add_f32_e32 v17, v19, v17
	v_fma_f32 v19, 0xbf7ba420, v56, -v116
	s_delay_alu instid0(VALU_DEP_4) | instskip(NEXT) | instid1(VALU_DEP_4)
	v_add_f32_e32 v140, v154, v140
	v_add_f32_e32 v142, v142, v148
	s_delay_alu instid0(VALU_DEP_4) | instskip(SKIP_1) | instid1(VALU_DEP_4)
	v_dual_mul_f32 v148, 0x3f763a35, v114 :: v_dual_add_f32 v13, v13, v17
	v_fma_f32 v17, 0xbe8c1d8e, v58, -v123
	v_dual_add_f32 v140, v145, v140 :: v_dual_fmamk_f32 v145, v54, 0x3dbcf732, v150
	v_add_f32_e32 v143, v167, v156
	s_delay_alu instid0(VALU_DEP_4) | instskip(SKIP_1) | instid1(VALU_DEP_4)
	v_add_f32_e32 v13, v15, v13
	v_fma_f32 v15, 0x3f6eb680, v60, -v127
	v_dual_add_f32 v140, v144, v140 :: v_dual_add_f32 v145, v145, v5
	s_delay_alu instid0(VALU_DEP_3) | instskip(NEXT) | instid1(VALU_DEP_2)
	v_add_f32_e32 v9, v9, v13
	v_dual_add_f32 v144, v147, v145 :: v_dual_fmamk_f32 v145, v58, 0xbe8c1d8e, v123
	v_fma_f32 v147, 0xbf7ba420, v55, -v110
	v_fmac_f32_e32 v139, 0xbf4c4adb, v120
	s_delay_alu instid0(VALU_DEP_4) | instskip(NEXT) | instid1(VALU_DEP_4)
	v_dual_mul_f32 v120, 0x3f2c7751, v120 :: v_dual_add_f32 v9, v11, v9
	v_dual_add_f32 v144, v145, v144 :: v_dual_fmamk_f32 v145, v60, 0x3f6eb680, v127
	s_delay_alu instid0(VALU_DEP_3) | instskip(NEXT) | instid1(VALU_DEP_2)
	v_add_f32_e32 v114, v139, v140
	v_dual_add_f32 v144, v145, v144 :: v_dual_fmamk_f32 v145, v63, 0x3ee437d1, v128
	s_delay_alu instid0(VALU_DEP_1) | instskip(SKIP_3) | instid1(VALU_DEP_3)
	v_add_f32_e32 v139, v145, v144
	v_fmamk_f32 v145, v70, 0xbf59a7d5, v130
	v_mul_f32_e32 v106, 0xbf7ee86f, v106
	v_fma_f32 v144, 0xbe8c1d8e, v57, -v148
	v_add_f32_e32 v139, v145, v139
	s_delay_alu instid0(VALU_DEP_3) | instskip(NEXT) | instid1(VALU_DEP_1)
	v_fma_f32 v146, 0x3dbcf732, v53, -v106
	v_add_f32_e32 v146, v146, v4
	s_delay_alu instid0(VALU_DEP_1) | instskip(NEXT) | instid1(VALU_DEP_1)
	v_add_f32_e32 v140, v147, v146
	v_add_f32_e32 v140, v144, v140
	s_delay_alu instid0(VALU_DEP_1) | instskip(SKIP_1) | instid1(VALU_DEP_1)
	v_add_f32_e32 v140, v141, v140
	v_mul_f32_e32 v141, 0xbf1a4643, v56
	v_add_f32_e32 v138, v138, v141
	v_mul_f32_e32 v141, 0x3ee437d1, v53
	s_delay_alu instid0(VALU_DEP_1) | instskip(NEXT) | instid1(VALU_DEP_1)
	v_dual_sub_f32 v90, v141, v90 :: v_dual_mul_f32 v141, 0xbe8c1d8e, v60
	v_add_f32_e32 v90, v90, v4
	s_delay_alu instid0(VALU_DEP_2) | instskip(SKIP_2) | instid1(VALU_DEP_2)
	v_add_f32_e32 v136, v136, v141
	v_mul_f32_e32 v144, 0x3ee437d1, v54
	v_mul_f32_e32 v141, 0xbf1a4643, v67
	v_add_f32_e32 v103, v103, v144
	v_fma_f32 v144, 0x3ee437d1, v61, -v124
	s_delay_alu instid0(VALU_DEP_3) | instskip(SKIP_1) | instid1(VALU_DEP_4)
	v_sub_f32_e32 v27, v141, v78
	v_add_f32_e32 v6, v32, v6
	v_dual_fmac_f32 v110, 0xbf7ba420, v55 :: v_dual_add_f32 v103, v103, v5
	s_delay_alu instid0(VALU_DEP_4) | instskip(SKIP_4) | instid1(VALU_DEP_4)
	v_add_f32_e32 v140, v144, v140
	v_mul_f32_e32 v144, 0xbf7ba420, v58
	v_mul_f32_e32 v126, 0xbf06c442, v126
	v_add_f32_e32 v6, v34, v6
	v_add_f32_e32 v103, v138, v103
	v_dual_mul_f32 v138, 0xbf1a4643, v55 :: v_dual_add_f32 v137, v137, v144
	v_mul_f32_e32 v132, 0x3f4c4adb, v132
	v_fmac_f32_e32 v148, 0xbe8c1d8e, v57
	s_delay_alu instid0(VALU_DEP_3) | instskip(NEXT) | instid1(VALU_DEP_3)
	v_dual_sub_f32 v102, v138, v102 :: v_dual_add_f32 v103, v137, v103
	v_fmamk_f32 v145, v72, 0xbf1a4643, v132
	s_delay_alu instid0(VALU_DEP_2) | instskip(SKIP_1) | instid1(VALU_DEP_3)
	v_dual_mul_f32 v137, 0xbf7ba420, v57 :: v_dual_add_f32 v90, v102, v90
	v_mul_f32_e32 v102, 0x3f3d2fb0, v63
	v_add_f32_e32 v139, v145, v139
	v_fma_f32 v145, 0xbf59a7d5, v67, -v126
	s_delay_alu instid0(VALU_DEP_4) | instskip(NEXT) | instid1(VALU_DEP_4)
	v_dual_add_f32 v103, v136, v103 :: v_dual_sub_f32 v108, v137, v108
	v_add_f32_e32 v102, v135, v102
	s_delay_alu instid0(VALU_DEP_3) | instskip(SKIP_1) | instid1(VALU_DEP_3)
	v_dual_mul_f32 v137, 0x3f6eb680, v54 :: v_dual_add_f32 v140, v145, v140
	v_mul_f32_e32 v136, 0xbe8c1d8e, v59
	v_dual_mul_f32 v135, 0x3f3d2fb0, v53 :: v_dual_add_f32 v102, v102, v103
	v_mul_f32_e32 v103, 0x3f3d2fb0, v61
	v_fma_f32 v13, 0x3ee437d1, v63, -v128
	v_fmac_f32_e32 v126, 0xbf59a7d5, v67
	s_delay_alu instid0(VALU_DEP_4) | instskip(SKIP_4) | instid1(VALU_DEP_4)
	v_sub_f32_e32 v76, v135, v76
	v_mul_f32_e32 v135, 0xbf7ba420, v60
	v_sub_f32_e32 v103, v103, v115
	v_dual_mul_f32 v115, 0x3f3d2fb0, v56 :: v_dual_add_f32 v90, v108, v90
	v_mul_f32_e32 v108, 0x3f6eb680, v70
	v_dual_mul_f32 v122, 0x3f4c4adb, v122 :: v_dual_add_f32 v91, v91, v135
	v_dual_add_f32 v76, v76, v4 :: v_dual_mul_f32 v135, 0xbf59a7d5, v63
	s_delay_alu instid0(VALU_DEP_3) | instskip(NEXT) | instid1(VALU_DEP_1)
	v_dual_add_f32 v108, v134, v108 :: v_dual_add_f32 v65, v65, v115
	v_dual_add_f32 v99, v99, v135 :: v_dual_add_f32 v102, v108, v102
	v_mul_f32_e32 v108, 0x3f6eb680, v67
	v_mul_f32_e32 v135, 0xbf59a7d5, v71
	s_delay_alu instid0(VALU_DEP_2) | instskip(NEXT) | instid1(VALU_DEP_1)
	v_dual_sub_f32 v108, v108, v119 :: v_dual_mul_f32 v119, 0x3dbcf732, v56
	v_dual_add_f32 v86, v86, v119 :: v_dual_mul_f32 v119, 0xbf1a4643, v58
	s_delay_alu instid0(VALU_DEP_1) | instskip(SKIP_1) | instid1(VALU_DEP_1)
	v_dual_add_f32 v88, v88, v119 :: v_dual_mul_f32 v119, 0xbe8c1d8e, v61
	v_dual_sub_f32 v111, v136, v111 :: v_dual_fmac_f32 v124, 0x3ee437d1, v61
	v_dual_add_f32 v90, v111, v90 :: v_dual_mul_f32 v111, 0x3dbcf732, v72
	s_delay_alu instid0(VALU_DEP_1)
	v_dual_add_f32 v90, v103, v90 :: v_dual_add_f32 v111, v133, v111
	v_mul_f32_e32 v103, 0x3dbcf732, v55
	v_mul_f32_e32 v136, 0x3f3d2fb0, v54
	v_fma_f32 v133, 0xbf1a4643, v71, -v122
	v_mul_f32_e32 v138, 0x3f6eb680, v53
	v_dual_add_f32 v102, v111, v102 :: v_dual_mul_f32 v111, 0x3dbcf732, v71
	s_delay_alu instid0(VALU_DEP_4) | instskip(NEXT) | instid1(VALU_DEP_4)
	v_dual_sub_f32 v79, v103, v79 :: v_dual_add_f32 v80, v80, v136
	v_dual_add_f32 v133, v133, v140 :: v_dual_mul_f32 v140, 0x3ee437d1, v57
	s_delay_alu instid0(VALU_DEP_3) | instskip(SKIP_1) | instid1(VALU_DEP_4)
	v_sub_f32_e32 v111, v111, v129
	v_mul_f32_e32 v129, 0xbf1a4643, v57
	v_add_f32_e32 v80, v80, v5
	v_mul_f32_e32 v134, 0x3f3d2fb0, v55
	v_dual_add_f32 v76, v79, v76 :: v_dual_mul_f32 v103, 0xbe8c1d8e, v63
	s_delay_alu instid0(VALU_DEP_4) | instskip(NEXT) | instid1(VALU_DEP_4)
	v_sub_f32_e32 v79, v129, v85
	v_dual_mul_f32 v129, 0xbe8c1d8e, v70 :: v_dual_add_f32 v80, v86, v80
	v_mul_f32_e32 v85, 0xbf1a4643, v70
	v_add_f32_e32 v90, v108, v90
	v_mul_f32_e32 v136, 0xbf59a7d5, v83
	v_add_f32_e32 v76, v79, v76
	v_add_f32_e32 v80, v88, v80
	v_sub_f32_e32 v62, v138, v62
	v_dual_add_f32 v90, v111, v90 :: v_dual_mul_f32 v111, 0x3dbcf732, v60
	v_sub_f32_e32 v64, v134, v64
	s_delay_alu instid0(VALU_DEP_4) | instskip(NEXT) | instid1(VALU_DEP_4)
	v_dual_add_f32 v80, v91, v80 :: v_dual_mul_f32 v91, 0xbe8c1d8e, v67
	v_add_f32_e32 v62, v62, v4
	v_dual_mul_f32 v108, 0x3ee437d1, v58 :: v_dual_sub_f32 v35, v140, v68
	s_delay_alu instid0(VALU_DEP_3) | instskip(SKIP_3) | instid1(VALU_DEP_3)
	v_dual_add_f32 v80, v99, v80 :: v_dual_add_f32 v99, v105, v129
	v_mul_f32_e32 v105, 0x3ee437d1, v72
	v_dual_mul_f32 v86, 0xbf7ba420, v59 :: v_dual_add_f32 v131, v131, v136
	v_sub_f32_e32 v91, v91, v100
	v_dual_add_f32 v80, v99, v80 :: v_dual_add_f32 v99, v109, v105
	s_delay_alu instid0(VALU_DEP_3) | instskip(SKIP_2) | instid1(VALU_DEP_4)
	v_dual_sub_f32 v79, v86, v89 :: v_dual_mul_f32 v86, 0xbf59a7d5, v72
	v_fmamk_f32 v105, v83, 0x3f3d2fb0, v120
	v_mul_f32_e32 v109, 0xbf59a7d5, v82
	v_add_f32_e32 v99, v99, v80
	s_delay_alu instid0(VALU_DEP_4) | instskip(SKIP_4) | instid1(VALU_DEP_4)
	v_add_f32_e32 v76, v79, v76
	v_mul_f32_e32 v88, 0xbf59a7d5, v61
	v_mul_f32_e32 v136, 0x3dbcf732, v59
	v_add_f32_e32 v80, v131, v102
	v_add_f32_e32 v62, v64, v62
	v_dual_add_f32 v102, v66, v137 :: v_dual_sub_f32 v79, v88, v92
	v_mul_f32_e32 v88, 0xbf7ba420, v83
	v_mul_f32_e32 v92, 0x3f6eb680, v82
	;; [unrolled: 1-line block ×3, first 2 shown]
	s_delay_alu instid0(VALU_DEP_4)
	v_dual_mul_f32 v100, 0x3f6eb680, v83 :: v_dual_add_f32 v79, v79, v76
	v_add_f32_e32 v76, v105, v139
	v_sub_f32_e32 v105, v109, v125
	v_mul_f32_e32 v129, 0xbf7ba420, v82
	v_add_f32_e32 v29, v35, v62
	v_dual_add_f32 v91, v91, v79 :: v_dual_sub_f32 v34, v136, v73
	s_delay_alu instid0(VALU_DEP_4) | instskip(SKIP_1) | instid1(VALU_DEP_3)
	v_dual_add_f32 v79, v105, v90 :: v_dual_add_f32 v90, v102, v5
	v_dual_add_f32 v31, v77, v103 :: v_dual_add_f32 v6, v28, v6
	;; [unrolled: 1-line block ×3, first 2 shown]
	s_delay_alu instid0(VALU_DEP_3) | instskip(SKIP_4) | instid1(VALU_DEP_4)
	v_add_f32_e32 v33, v65, v90
	v_add_f32_e32 v65, v69, v108
	;; [unrolled: 1-line block ×4, first 2 shown]
	v_dual_add_f32 v30, v81, v85 :: v_dual_sub_f32 v29, v119, v75
	v_dual_add_f32 v32, v65, v33 :: v_dual_add_f32 v33, v74, v111
	s_delay_alu instid0(VALU_DEP_3) | instskip(SKIP_2) | instid1(VALU_DEP_4)
	v_dual_add_f32 v6, v24, v6 :: v_dual_sub_f32 v89, v89, v107
	v_fmac_f32_e32 v122, 0xbf1a4643, v71
	v_fmac_f32_e32 v106, 0x3dbcf732, v53
	v_add_f32_e32 v32, v33, v32
	v_add_f32_e32 v66, v100, v99
	v_dual_mul_f32 v118, 0x3f2c7751, v118 :: v_dual_add_f32 v89, v89, v91
	v_sub_f32_e32 v91, v92, v112
	s_delay_alu instid0(VALU_DEP_4) | instskip(NEXT) | instid1(VALU_DEP_3)
	v_add_f32_e32 v25, v31, v32
	v_fma_f32 v109, 0x3f3d2fb0, v82, -v118
	s_delay_alu instid0(VALU_DEP_3) | instskip(NEXT) | instid1(VALU_DEP_3)
	v_dual_fmac_f32 v118, 0x3f3d2fb0, v82 :: v_dual_add_f32 v65, v91, v89
	v_dual_add_f32 v24, v30, v25 :: v_dual_add_f32 v25, v87, v86
	s_delay_alu instid0(VALU_DEP_3) | instskip(NEXT) | instid1(VALU_DEP_2)
	v_add_f32_e32 v75, v109, v133
	v_add_f32_e32 v24, v25, v24
	s_delay_alu instid0(VALU_DEP_1) | instskip(SKIP_1) | instid1(VALU_DEP_1)
	v_add_f32_e32 v7, v23, v24
	v_fma_f32 v23, 0x3dbcf732, v54, -v150
	v_dual_add_f32 v28, v29, v28 :: v_dual_add_f32 v5, v23, v5
	s_delay_alu instid0(VALU_DEP_1) | instskip(NEXT) | instid1(VALU_DEP_1)
	v_dual_add_f32 v6, v26, v6 :: v_dual_add_f32 v21, v27, v28
	v_dual_add_f32 v5, v19, v5 :: v_dual_add_f32 v6, v20, v6
	s_delay_alu instid0(VALU_DEP_1) | instskip(NEXT) | instid1(VALU_DEP_1)
	v_dual_sub_f32 v26, v135, v84 :: v_dual_add_f32 v5, v17, v5
	v_dual_add_f32 v22, v22, v6 :: v_dual_add_f32 v5, v15, v5
	s_delay_alu instid0(VALU_DEP_1) | instskip(NEXT) | instid1(VALU_DEP_2)
	v_add_f32_e32 v16, v16, v22
	v_dual_add_f32 v4, v106, v4 :: v_dual_add_f32 v11, v13, v5
	s_delay_alu instid0(VALU_DEP_2) | instskip(NEXT) | instid1(VALU_DEP_2)
	v_dual_add_f32 v16, v18, v16 :: v_dual_add_f32 v5, v37, v9
	v_add_f32_e32 v4, v110, v4
	s_delay_alu instid0(VALU_DEP_2) | instskip(NEXT) | instid1(VALU_DEP_2)
	v_add_f32_e32 v12, v12, v16
	v_add_f32_e32 v4, v148, v4
	s_delay_alu instid0(VALU_DEP_2) | instskip(NEXT) | instid1(VALU_DEP_2)
	v_add_f32_e32 v12, v14, v12
	v_add_f32_e32 v4, v117, v4
	s_delay_alu instid0(VALU_DEP_2) | instskip(SKIP_1) | instid1(VALU_DEP_3)
	v_add_f32_e32 v8, v8, v12
	v_fma_f32 v12, 0xbf59a7d5, v70, -v130
	v_add_f32_e32 v4, v124, v4
	v_add_f32_e32 v20, v26, v21
	s_delay_alu instid0(VALU_DEP_4) | instskip(NEXT) | instid1(VALU_DEP_4)
	v_dual_sub_f32 v21, v129, v101 :: v_dual_add_f32 v8, v10, v8
	v_add_f32_e32 v9, v12, v11
	v_mul_lo_u16 v10, v97, 17
	v_fma_f32 v11, 0xbf1a4643, v72, -v132
	v_add_f32_e32 v12, v126, v4
	v_add_f32_e32 v4, v36, v8
	;; [unrolled: 1-line block ×3, first 2 shown]
	s_delay_alu instid0(VALU_DEP_4) | instskip(SKIP_2) | instid1(VALU_DEP_3)
	v_dual_add_f32 v9, v11, v9 :: v_dual_and_b32 v8, 0xffff, v10
	v_fma_f32 v10, 0x3f3d2fb0, v83, -v120
	v_add_f32_e32 v11, v122, v12
	v_add_lshl_u32 v12, v96, v8, 3
	s_delay_alu instid0(VALU_DEP_3) | instskip(NEXT) | instid1(VALU_DEP_3)
	v_add_f32_e32 v9, v10, v9
	v_add_f32_e32 v8, v118, v11
	ds_store_2addr_b64 v12, v[4:5], v[6:7] offset1:1
	ds_store_2addr_b64 v12, v[65:66], v[79:80] offset0:2 offset1:3
	ds_store_2addr_b64 v12, v[75:76], v[113:114] offset0:4 offset1:5
	ds_store_2addr_b64 v12, v[142:143], v[51:52] offset0:6 offset1:7
	ds_store_2addr_b64 v12, v[49:50], v[47:48] offset0:8 offset1:9
	ds_store_2addr_b64 v12, v[42:43], v[40:41] offset0:10 offset1:11
	ds_store_2addr_b64 v12, v[38:39], v[8:9] offset0:12 offset1:13
	ds_store_2addr_b64 v12, v[0:1], v[2:3] offset0:14 offset1:15
	ds_store_b64 v12, v[45:46] offset:128
.LBB0_7:
	s_wait_alu 0xfffe
	s_or_b32 exec_lo, exec_lo, s0
	v_add_nc_u16 v4, v97, 34
	v_add_co_u32 v6, s0, 0xffffffef, v97
	s_wait_alu 0xf1ff
	v_add_co_ci_u32_e64 v7, null, 0, -1, s0
	s_delay_alu instid0(VALU_DEP_3)
	v_and_b32_e32 v5, 0xff, v4
	v_cmp_gt_u16_e64 s0, 17, v97
	v_add_nc_u16 v8, v97, 0x44
	v_add_nc_u16 v9, v97, 0x66
	s_load_b128 s[4:7], s[4:5], 0x0
	v_mul_lo_u16 v5, 0xf1, v5
	v_cndmask_b32_e64 v18, v7, 0, s0
	v_cndmask_b32_e64 v17, v6, v97, s0
	global_wb scope:SCOPE_SE
	s_wait_dscnt 0x0
	s_wait_kmcnt 0x0
	s_barrier_signal -1
	v_lshrrev_b16 v33, 12, v5
	s_barrier_wait -1
	global_inv scope:SCOPE_SE
	v_add_nc_u16 v10, v97, 0x88
	v_add_nc_u16 v11, v97, 0xaa
	v_mul_lo_u16 v5, v33, 17
	v_add_nc_u16 v12, v97, 0xcc
	v_add_lshl_u32 v99, v96, v97, 3
	v_and_b32_e32 v13, 0xff, v10
	v_mad_co_u64_u32 v[41:42], null, v97, 48, s[2:3]
	v_sub_nc_u16 v34, v4, v5
	v_lshlrev_b64_e32 v[4:5], 3, v[17:18]
	v_lshl_add_u32 v108, v97, 3, v98
	v_lshlrev_b32_e32 v107, 3, v97
	s_delay_alu instid0(VALU_DEP_4)
	v_and_b32_e32 v15, 0xff, v34
	v_mad_u16 v33, v33, 34, v34
	v_add_co_u32 v4, s0, s2, v4
	s_wait_alu 0xf1ff
	v_add_co_ci_u32_e64 v5, s0, s3, v5, s0
	v_lshlrev_b32_e32 v15, 3, v15
	v_cmp_lt_u16_e64 s0, 16, v97
	v_add_nc_u32_e32 v88, 0x400, v108
	s_clause 0x1
	global_load_b64 v[59:60], v[4:5], off
	global_load_b64 v[53:54], v15, s[2:3]
	v_and_b32_e32 v6, 0xff, v8
	v_and_b32_e32 v7, 0xff, v9
	;; [unrolled: 1-line block ×3, first 2 shown]
	s_wait_alu 0xf1ff
	v_cndmask_b32_e64 v18, 0, 34, s0
	v_mul_lo_u16 v6, 0xf1, v6
	v_mul_lo_u16 v7, 0xf1, v7
	s_delay_alu instid0(VALU_DEP_2) | instskip(SKIP_1) | instid1(VALU_DEP_3)
	v_lshrrev_b16 v35, 12, v6
	v_and_b32_e32 v6, 0xff, v12
	v_lshrrev_b16 v36, 12, v7
	v_mul_lo_u16 v7, 0xf1, v13
	v_mul_lo_u16 v13, 0xf1, v14
	;; [unrolled: 1-line block ×5, first 2 shown]
	v_lshrrev_b16 v37, 12, v7
	v_lshrrev_b16 v38, 12, v13
	v_sub_nc_u16 v4, v8, v14
	v_lshrrev_b16 v39, 12, v6
	v_sub_nc_u16 v6, v9, v16
	v_mul_lo_u16 v5, v37, 17
	v_mul_lo_u16 v7, v38, 17
	v_and_b32_e32 v40, 0xff, v4
	v_mul_lo_u16 v8, v39, 17
	v_and_b32_e32 v43, 0xff, v6
	v_sub_nc_u16 v4, v10, v5
	v_sub_nc_u16 v5, v11, v7
	v_lshlrev_b32_e32 v7, 3, v40
	v_sub_nc_u16 v6, v12, v8
	s_delay_alu instid0(VALU_DEP_4)
	v_and_b32_e32 v61, 0xff, v4
	v_lshlrev_b32_e32 v4, 3, v43
	global_load_b64 v[55:56], v7, s[2:3]
	v_and_b32_e32 v63, 0xff, v6
	global_load_b64 v[57:58], v4, s[2:3]
	v_and_b32_e32 v62, 0xff, v5
	v_lshlrev_b32_e32 v5, 3, v61
	v_lshlrev_b32_e32 v4, 3, v63
	s_delay_alu instid0(VALU_DEP_3)
	v_lshlrev_b32_e32 v6, 3, v62
	s_clause 0x2
	global_load_b64 v[51:52], v5, s[2:3]
	global_load_b64 v[49:50], v6, s[2:3]
	;; [unrolled: 1-line block ×3, first 2 shown]
	v_add_nc_u32_e32 v16, 0x800, v99
	ds_load_2addr_b64 v[4:7], v99 offset1:34
	ds_load_2addr_b64 v[8:11], v99 offset0:204 offset1:238
	ds_load_2addr_b64 v[12:15], v99 offset0:68 offset1:102
	v_add_nc_u32_e32 v64, v17, v18
	ds_load_2addr_b64 v[17:20], v99 offset0:136 offset1:170
	ds_load_2addr_b64 v[21:24], v16 offset0:16 offset1:50
	;; [unrolled: 1-line block ×4, first 2 shown]
	v_and_b32_e32 v36, 0xffff, v36
	v_and_b32_e32 v37, 0xffff, v37
	;; [unrolled: 1-line block ×4, first 2 shown]
	global_wb scope:SCOPE_SE
	s_wait_loadcnt_dscnt 0x0
	v_mul_u32_u24_e32 v34, 34, v36
	v_mul_u32_u24_e32 v36, 34, v37
	;; [unrolled: 1-line block ×4, first 2 shown]
	s_barrier_signal -1
	s_barrier_wait -1
	global_inv scope:SCOPE_SE
	v_add_nc_u32_e32 v37, v37, v62
	s_delay_alu instid0(VALU_DEP_1) | instskip(SKIP_4) | instid1(VALU_DEP_2)
	v_add_lshl_u32 v102, v96, v37, 3
	v_mul_f32_e32 v39, v11, v60
	v_dual_mul_f32 v37, v26, v58 :: v_dual_mul_f32 v62, v32, v48
	v_add_nc_u32_e32 v34, v34, v43
	v_mul_f32_e32 v43, v30, v50
	v_add_lshl_u32 v104, v96, v34, 3
	v_mul_f32_e32 v34, v21, v54
	s_delay_alu instid0(VALU_DEP_1) | instskip(SKIP_1) | instid1(VALU_DEP_1)
	v_fmac_f32_e32 v34, v22, v53
	v_dual_mul_f32 v63, v31, v48 :: v_dual_add_nc_u32 v38, v38, v63
	v_add_lshl_u32 v101, v96, v38, 3
	v_dual_mul_f32 v38, v25, v58 :: v_dual_and_b32 v35, 0xffff, v35
	v_dual_mul_f32 v61, v29, v50 :: v_dual_add_nc_u32 v36, v36, v61
	s_delay_alu instid0(VALU_DEP_2) | instskip(NEXT) | instid1(VALU_DEP_3)
	v_dual_fmac_f32 v63, v32, v47 :: v_dual_fmac_f32 v38, v26, v57
	v_mul_u32_u24_e32 v35, 34, v35
	s_delay_alu instid0(VALU_DEP_3) | instskip(SKIP_1) | instid1(VALU_DEP_3)
	v_fmac_f32_e32 v61, v30, v49
	v_add_lshl_u32 v100, v96, v64, 3
	v_add_nc_u32_e32 v35, v35, v40
	v_mul_f32_e32 v40, v10, v60
	s_delay_alu instid0(VALU_DEP_4) | instskip(SKIP_4) | instid1(VALU_DEP_4)
	v_sub_f32_e32 v26, v20, v61
	v_fma_f32 v10, v10, v59, -v39
	v_mul_f32_e32 v39, v28, v52
	v_add_lshl_u32 v105, v96, v35, 3
	v_dual_fmac_f32 v40, v11, v59 :: v_dual_mul_f32 v35, v24, v56
	v_sub_f32_e32 v10, v4, v10
	v_fma_f32 v20, v20, 2.0, -v26
	v_mul_hi_i32_i24_e32 v61, 0xffffffd8, v97
	s_delay_alu instid0(VALU_DEP_4) | instskip(SKIP_2) | instid1(VALU_DEP_3)
	v_sub_f32_e32 v11, v5, v40
	v_mul_f32_e32 v40, v27, v52
	v_fma_f32 v4, v4, 2.0, -v10
	v_fma_f32 v5, v5, 2.0, -v11
	s_delay_alu instid0(VALU_DEP_3)
	v_fmac_f32_e32 v40, v28, v51
	v_sub_f32_e32 v28, v9, v63
	ds_store_2addr_b64 v100, v[4:5], v[10:11] offset1:17
	v_fma_f32 v10, v23, v55, -v35
	v_and_b32_e32 v33, 0xff, v33
	v_sub_f32_e32 v5, v7, v34
	v_add_lshl_u32 v103, v96, v36, 3
	v_mul_f32_e32 v36, v23, v56
	v_sub_f32_e32 v10, v12, v10
	v_add_lshl_u32 v106, v96, v33, 3
	v_mul_f32_e32 v33, v22, v54
	v_fma_f32 v23, v27, v51, -v39
	v_fmac_f32_e32 v36, v24, v55
	v_fma_f32 v27, v31, v47, -v62
	v_sub_f32_e32 v22, v15, v38
	v_fma_f32 v4, v21, v53, -v33
	v_fma_f32 v21, v25, v57, -v37
	;; [unrolled: 1-line block ×3, first 2 shown]
	v_sub_f32_e32 v11, v13, v36
	s_delay_alu instid0(VALU_DEP_4) | instskip(NEXT) | instid1(VALU_DEP_4)
	v_dual_sub_f32 v23, v17, v23 :: v_dual_sub_f32 v4, v6, v4
	v_sub_f32_e32 v21, v14, v21
	s_delay_alu instid0(VALU_DEP_4) | instskip(SKIP_1) | instid1(VALU_DEP_4)
	v_dual_sub_f32 v24, v18, v40 :: v_dual_sub_f32 v25, v19, v25
	v_sub_f32_e32 v27, v8, v27
	v_fma_f32 v6, v6, 2.0, -v4
	v_fma_f32 v7, v7, 2.0, -v5
	;; [unrolled: 1-line block ×11, first 2 shown]
	ds_store_2addr_b64 v106, v[6:7], v[4:5] offset1:17
	ds_store_2addr_b64 v105, v[12:13], v[10:11] offset1:17
	;; [unrolled: 1-line block ×6, first 2 shown]
	global_wb scope:SCOPE_SE
	s_wait_dscnt 0x0
	s_barrier_signal -1
	s_barrier_wait -1
	global_inv scope:SCOPE_SE
	s_clause 0x2
	global_load_b128 v[12:15], v[41:42], off offset:136
	global_load_b128 v[8:11], v[41:42], off offset:152
	;; [unrolled: 1-line block ×3, first 2 shown]
	ds_load_2addr_b64 v[17:20], v99 offset0:68 offset1:102
	ds_load_2addr_b64 v[21:24], v99 offset0:136 offset1:170
	;; [unrolled: 1-line block ×6, first 2 shown]
	v_mul_i32_i24_e32 v43, 0xffffffd8, v97
	s_delay_alu instid0(VALU_DEP_1)
	v_add_co_u32 v41, s0, v41, v43
	s_wait_alu 0xf1ff
	v_add_co_ci_u32_e64 v42, s0, v42, v61, s0
	ds_load_2addr_b64 v[61:64], v99 offset1:34
	global_wb scope:SCOPE_SE
	s_wait_loadcnt_dscnt 0x0
	s_barrier_signal -1
	s_barrier_wait -1
	global_inv scope:SCOPE_SE
	v_mul_f32_e32 v43, v18, v13
	v_mul_f32_e32 v65, v17, v13
	;; [unrolled: 1-line block ×3, first 2 shown]
	v_dual_mul_f32 v66, v22, v15 :: v_dual_mul_f32 v69, v25, v9
	v_dual_mul_f32 v74, v38, v7 :: v_dual_mul_f32 v77, v19, v13
	;; [unrolled: 1-line block ×4, first 2 shown]
	v_mul_f32_e32 v68, v26, v9
	v_dual_mul_f32 v70, v30, v11 :: v_dual_mul_f32 v73, v33, v5
	v_dual_mul_f32 v71, v29, v11 :: v_dual_mul_f32 v80, v28, v9
	v_dual_mul_f32 v86, v40, v7 :: v_dual_fmac_f32 v65, v18, v12
	v_fma_f32 v17, v17, v12, -v43
	v_fmac_f32_e32 v75, v38, v6
	v_fmac_f32_e32 v69, v26, v8
	v_fma_f32 v26, v37, v6, -v74
	v_dual_mul_f32 v82, v32, v11 :: v_dual_mul_f32 v85, v35, v5
	v_fma_f32 v18, v21, v14, -v66
	v_fmac_f32_e32 v67, v22, v14
	v_fma_f32 v21, v25, v8, -v68
	v_fma_f32 v22, v29, v10, -v70
	;; [unrolled: 1-line block ×3, first 2 shown]
	v_mul_f32_e32 v79, v23, v15
	v_add_f32_e32 v29, v17, v26
	v_sub_f32_e32 v17, v17, v26
	v_dual_sub_f32 v26, v65, v75 :: v_dual_fmac_f32 v73, v34, v4
	v_dual_fmac_f32 v71, v30, v10 :: v_dual_mul_f32 v78, v24, v15
	v_mul_f32_e32 v81, v27, v9
	v_fmac_f32_e32 v79, v24, v14
	v_fma_f32 v24, v31, v10, -v82
	v_add_f32_e32 v30, v65, v75
	v_add_f32_e32 v33, v21, v22
	;; [unrolled: 1-line block ×3, first 2 shown]
	v_mul_f32_e32 v83, v31, v11
	v_sub_f32_e32 v21, v22, v21
	v_add_f32_e32 v31, v18, v25
	v_sub_f32_e32 v18, v18, v25
	v_fma_f32 v19, v19, v12, -v76
	s_delay_alu instid0(VALU_DEP_2)
	v_dual_sub_f32 v25, v67, v73 :: v_dual_sub_f32 v70, v21, v18
	v_add_f32_e32 v68, v21, v18
	v_dual_fmac_f32 v83, v32, v10 :: v_dual_sub_f32 v66, v31, v29
	v_add_f32_e32 v32, v67, v73
	v_mul_f32_e32 v87, v39, v7
	v_fmac_f32_e32 v85, v36, v4
	v_fmac_f32_e32 v77, v20, v12
	v_fma_f32 v20, v23, v14, -v78
	v_fma_f32 v23, v27, v8, -v80
	;; [unrolled: 1-line block ×3, first 2 shown]
	v_dual_add_f32 v38, v79, v85 :: v_dual_add_f32 v65, v32, v30
	v_dual_sub_f32 v22, v71, v69 :: v_dual_sub_f32 v67, v32, v30
	v_sub_f32_e32 v30, v30, v34
	v_dual_sub_f32 v32, v34, v32 :: v_dual_fmac_f32 v87, v40, v6
	v_fmac_f32_e32 v81, v28, v8
	v_fma_f32 v28, v39, v6, -v86
	v_add_f32_e32 v39, v23, v24
	v_dual_sub_f32 v23, v24, v23 :: v_dual_add_f32 v34, v34, v65
	v_add_f32_e32 v37, v20, v27
	s_delay_alu instid0(VALU_DEP_4) | instskip(SKIP_3) | instid1(VALU_DEP_4)
	v_dual_sub_f32 v20, v20, v27 :: v_dual_add_f32 v35, v19, v28
	v_add_f32_e32 v69, v22, v25
	v_sub_f32_e32 v71, v22, v25
	v_sub_f32_e32 v22, v26, v22
	v_add_f32_e32 v76, v23, v20
	v_dual_sub_f32 v19, v19, v28 :: v_dual_sub_f32 v74, v37, v35
	v_sub_f32_e32 v28, v77, v87
	v_add_f32_e32 v40, v81, v83
	v_sub_f32_e32 v24, v83, v81
	v_dual_add_f32 v36, v77, v87 :: v_dual_add_f32 v43, v31, v29
	v_sub_f32_e32 v78, v23, v20
	v_dual_sub_f32 v27, v79, v85 :: v_dual_sub_f32 v80, v20, v19
	s_delay_alu instid0(VALU_DEP_3) | instskip(NEXT) | instid1(VALU_DEP_3)
	v_add_f32_e32 v73, v38, v36
	v_dual_sub_f32 v75, v38, v36 :: v_dual_mul_f32 v78, 0xbf08b237, v78
	v_sub_f32_e32 v36, v36, v40
	v_dual_sub_f32 v72, v18, v17 :: v_dual_sub_f32 v31, v33, v31
	v_sub_f32_e32 v29, v29, v33
	v_sub_f32_e32 v25, v25, v26
	v_add_f32_e32 v18, v37, v35
	v_sub_f32_e32 v38, v40, v38
	v_add_f32_e32 v40, v40, v73
	v_dual_mul_f32 v20, 0x3f4a47b2, v29 :: v_dual_mul_f32 v29, 0x3f4a47b2, v30
	v_add_f32_e32 v77, v24, v27
	v_sub_f32_e32 v79, v24, v27
	v_dual_sub_f32 v23, v19, v23 :: v_dual_sub_f32 v24, v28, v24
	v_add_f32_e32 v33, v33, v43
	v_dual_mul_f32 v65, 0x3d64c772, v32 :: v_dual_fmamk_f32 v32, v32, 0x3d64c772, v29
	v_dual_add_f32 v43, v68, v17 :: v_dual_mul_f32 v68, 0xbf08b237, v70
	v_dual_sub_f32 v21, v17, v21 :: v_dual_mul_f32 v36, 0x3f4a47b2, v36
	v_sub_f32_e32 v35, v35, v39
	v_sub_f32_e32 v27, v27, v28
	v_dual_sub_f32 v37, v39, v37 :: v_dual_mul_f32 v30, 0x3d64c772, v31
	v_mul_f32_e32 v70, 0x3f5ff5aa, v72
	v_add_f32_e32 v26, v69, v26
	v_add_f32_e32 v39, v39, v18
	v_dual_add_f32 v18, v62, v34 :: v_dual_fmamk_f32 v31, v31, 0x3d64c772, v20
	v_fma_f32 v62, 0xbf3bfb3b, v66, -v20
	v_fma_f32 v29, 0xbf3bfb3b, v67, -v29
	v_dual_add_f32 v20, v64, v40 :: v_dual_add_f32 v17, v61, v33
	v_fma_f32 v61, 0x3f3bfb3b, v67, -v65
	v_mul_f32_e32 v69, 0xbf08b237, v71
	v_fma_f32 v67, 0x3f5ff5aa, v72, -v68
	v_add_f32_e32 v28, v77, v28
	v_fma_f32 v30, 0x3f3bfb3b, v66, -v30
	v_fmamk_f32 v64, v23, 0x3eae86e6, v78
	v_fmamk_f32 v66, v22, 0x3eae86e6, v69
	v_fmac_f32_e32 v67, 0x3ee1c552, v43
	v_fmamk_f32 v65, v21, 0x3eae86e6, v68
	v_fma_f32 v68, 0x3f5ff5aa, v25, -v69
	v_fma_f32 v69, 0xbeae86e6, v21, -v70
	v_mul_f32_e32 v71, 0x3f5ff5aa, v25
	v_dual_add_f32 v73, v76, v19 :: v_dual_fmac_f32 v66, 0x3ee1c552, v26
	v_fmac_f32_e32 v65, 0x3ee1c552, v43
	s_delay_alu instid0(VALU_DEP_4)
	v_fmac_f32_e32 v69, 0x3ee1c552, v43
	v_mul_f32_e32 v79, 0xbf08b237, v79
	v_fma_f32 v70, 0xbeae86e6, v22, -v71
	v_fmamk_f32 v22, v38, 0x3d64c772, v36
	v_mul_f32_e32 v82, 0x3f5ff5aa, v27
	v_mul_f32_e32 v76, 0x3d64c772, v37
	v_fma_f32 v36, 0xbf3bfb3b, v75, -v36
	v_fma_f32 v72, 0x3f5ff5aa, v27, -v79
	v_fmac_f32_e32 v64, 0x3ee1c552, v73
	v_mul_f32_e32 v35, 0x3f4a47b2, v35
	v_fmamk_f32 v27, v40, 0xbf955555, v20
	v_mul_f32_e32 v81, 0x3f5ff5aa, v80
	v_mul_f32_e32 v77, 0x3d64c772, v38
	v_fma_f32 v25, 0x3f3bfb3b, v74, -v76
	v_fmamk_f32 v21, v37, 0x3d64c772, v35
	v_fma_f32 v35, 0xbf3bfb3b, v74, -v35
	v_fma_f32 v74, 0xbeae86e6, v23, -v81
	v_dual_add_f32 v19, v63, v39 :: v_dual_fmac_f32 v70, 0x3ee1c552, v26
	v_fma_f32 v37, 0x3f3bfb3b, v75, -v77
	v_fma_f32 v75, 0xbeae86e6, v24, -v82
	s_delay_alu instid0(VALU_DEP_4)
	v_fmac_f32_e32 v74, 0x3ee1c552, v73
	v_fmamk_f32 v63, v24, 0x3eae86e6, v79
	v_fmamk_f32 v24, v34, 0xbf955555, v18
	v_fma_f32 v71, 0x3f5ff5aa, v80, -v78
	v_fmac_f32_e32 v68, 0x3ee1c552, v26
	v_fmac_f32_e32 v72, 0x3ee1c552, v28
	s_delay_alu instid0(VALU_DEP_3) | instskip(SKIP_1) | instid1(VALU_DEP_2)
	v_dual_add_f32 v32, v32, v24 :: v_dual_fmac_f32 v71, 0x3ee1c552, v73
	v_dual_add_f32 v73, v22, v27 :: v_dual_add_f32 v34, v29, v24
	v_sub_f32_e32 v22, v32, v65
	v_add_f32_e32 v32, v65, v32
	v_add_f32_e32 v40, v37, v27
	v_fmamk_f32 v23, v33, 0xbf955555, v17
	v_fmac_f32_e32 v63, 0x3ee1c552, v28
	s_delay_alu instid0(VALU_DEP_3) | instskip(NEXT) | instid1(VALU_DEP_3)
	v_add_f32_e32 v38, v71, v40
	v_dual_fmamk_f32 v26, v39, 0xbf955555, v19 :: v_dual_add_f32 v33, v62, v23
	v_dual_add_f32 v62, v36, v27 :: v_dual_fmac_f32 v75, 0x3ee1c552, v28
	v_add_f32_e32 v28, v30, v23
	v_add_f32_e32 v30, v61, v24
	s_delay_alu instid0(VALU_DEP_4) | instskip(SKIP_1) | instid1(VALU_DEP_4)
	v_add_f32_e32 v39, v25, v26
	v_add_f32_e32 v61, v35, v26
	v_dual_sub_f32 v36, v62, v74 :: v_dual_sub_f32 v25, v28, v68
	s_delay_alu instid0(VALU_DEP_4)
	v_dual_add_f32 v27, v68, v28 :: v_dual_sub_f32 v28, v30, v67
	v_add_f32_e32 v31, v31, v23
	v_dual_add_f32 v43, v21, v26 :: v_dual_sub_f32 v24, v34, v69
	v_add_f32_e32 v26, v67, v30
	v_add_f32_e32 v30, v69, v34
	v_sub_f32_e32 v34, v73, v64
	v_dual_add_f32 v64, v64, v73 :: v_dual_add_f32 v21, v66, v31
	v_add_f32_e32 v23, v70, v33
	v_sub_f32_e32 v29, v33, v70
	v_dual_sub_f32 v31, v31, v66 :: v_dual_sub_f32 v40, v40, v71
	v_dual_add_f32 v33, v63, v43 :: v_dual_add_f32 v62, v74, v62
	v_add_f32_e32 v35, v75, v61
	v_sub_f32_e32 v61, v61, v75
	v_sub_f32_e32 v63, v43, v63
	v_sub_f32_e32 v37, v39, v72
	v_add_f32_e32 v39, v72, v39
	ds_store_2addr_b64 v99, v[17:18], v[21:22] offset1:34
	ds_store_2addr_b64 v99, v[23:24], v[25:26] offset0:68 offset1:102
	ds_store_2addr_b64 v99, v[27:28], v[29:30] offset0:136 offset1:170
	;; [unrolled: 1-line block ×6, first 2 shown]
	global_wb scope:SCOPE_SE
	s_wait_dscnt 0x0
	s_barrier_signal -1
	s_barrier_wait -1
	global_inv scope:SCOPE_SE
	s_clause 0x6
	global_load_b64 v[69:70], v[41:42], off offset:1768
	global_load_b64 v[73:74], v[41:42], off offset:2040
	;; [unrolled: 1-line block ×7, first 2 shown]
	ds_load_2addr_b64 v[20:23], v99 offset0:204 offset1:238
	ds_load_2addr_b64 v[24:27], v16 offset0:16 offset1:50
	;; [unrolled: 1-line block ×4, first 2 shown]
	ds_load_2addr_b64 v[76:79], v99 offset1:34
	ds_load_2addr_b64 v[80:83], v99 offset0:68 offset1:102
	ds_load_2addr_b64 v[84:87], v99 offset0:136 offset1:170
	s_wait_loadcnt_dscnt 0x606
	v_mul_f32_e32 v32, v23, v70
	v_mul_f32_e32 v33, v22, v70
	s_wait_loadcnt_dscnt 0x505
	v_mul_f32_e32 v34, v25, v74
	v_mul_f32_e32 v35, v24, v74
	s_wait_loadcnt 0x4
	v_mul_f32_e32 v36, v27, v66
	s_wait_loadcnt_dscnt 0x304
	v_dual_mul_f32 v37, v26, v66 :: v_dual_mul_f32 v38, v29, v72
	s_wait_loadcnt 0x2
	v_dual_mul_f32 v40, v28, v72 :: v_dual_mul_f32 v39, v31, v62
	s_wait_loadcnt_dscnt 0x103
	v_dual_mul_f32 v41, v30, v62 :: v_dual_mul_f32 v42, v17, v64
	v_mul_f32_e32 v89, v16, v64
	s_wait_loadcnt 0x0
	v_mul_f32_e32 v43, v19, v68
	v_mul_f32_e32 v90, v18, v68
	v_fma_f32 v22, v22, v69, -v32
	v_fmac_f32_e32 v33, v23, v69
	v_fma_f32 v23, v24, v73, -v34
	v_fmac_f32_e32 v35, v25, v73
	;; [unrolled: 2-line block ×7, first 2 shown]
	v_add_nc_u32_e32 v75, v107, v98
	s_wait_dscnt 0x2
	v_dual_sub_f32 v18, v76, v22 :: v_dual_sub_f32 v19, v77, v33
	v_sub_f32_e32 v22, v20, v17
	v_sub_f32_e32 v42, v78, v23
	s_wait_dscnt 0x1
	v_dual_sub_f32 v43, v79, v35 :: v_dual_sub_f32 v38, v80, v24
	v_sub_f32_e32 v39, v81, v37
	v_dual_sub_f32 v34, v82, v25 :: v_dual_sub_f32 v35, v83, v40
	s_wait_dscnt 0x0
	v_dual_sub_f32 v30, v84, v26 :: v_dual_sub_f32 v31, v85, v41
	v_dual_sub_f32 v26, v86, v16 :: v_dual_sub_f32 v27, v87, v89
	v_sub_f32_e32 v23, v21, v90
	v_fma_f32 v16, v76, 2.0, -v18
	v_fma_f32 v17, v77, 2.0, -v19
	;; [unrolled: 1-line block ×14, first 2 shown]
	ds_store_2addr_b64 v88, v[18:19], v[42:43] offset0:110 offset1:144
	ds_store_2addr_b64 v108, v[16:17], v[40:41] offset1:34
	ds_store_b64 v108, v[36:37] offset:544
	ds_store_b64 v75, v[38:39] offset:2448
	;; [unrolled: 1-line block ×10, first 2 shown]
	global_wb scope:SCOPE_SE
	s_wait_dscnt 0x0
	s_barrier_signal -1
	s_barrier_wait -1
	global_inv scope:SCOPE_SE
	s_and_saveexec_b32 s2, vcc_lo
	s_cbranch_execz .LBB0_9
; %bb.8:
	s_add_nc_u64 s[0:1], s[12:13], 0xee0
	s_clause 0x10
	global_load_b64 v[125:126], v94, s[12:13] offset:3808
	global_load_b64 v[127:128], v94, s[0:1] offset:224
	;; [unrolled: 1-line block ×17, first 2 shown]
	ds_load_2addr_b64 v[76:79], v108 offset1:28
	ds_load_2addr_b64 v[80:83], v108 offset0:56 offset1:84
	ds_load_2addr_b64 v[84:87], v108 offset0:112 offset1:140
	ds_load_2addr_b64 v[88:91], v108 offset0:168 offset1:196
	s_wait_loadcnt_dscnt 0x1003
	v_dual_mul_f32 v162, v76, v126 :: v_dual_add_nc_u32 v163, 0x800, v108
	ds_load_2addr_b64 v[109:112], v108 offset0:224 offset1:252
	ds_load_b64 v[159:160], v108 offset:3584
	ds_load_2addr_b64 v[113:116], v163 offset0:24 offset1:52
	ds_load_2addr_b64 v[117:120], v163 offset0:80 offset1:108
	;; [unrolled: 1-line block ×3, first 2 shown]
	s_wait_loadcnt 0xf
	v_dual_mul_f32 v161, v77, v126 :: v_dual_mul_f32 v164, v79, v128
	s_wait_loadcnt_dscnt 0xe07
	v_dual_mul_f32 v126, v78, v128 :: v_dual_mul_f32 v165, v81, v130
	v_mul_f32_e32 v128, v80, v130
	s_wait_loadcnt_dscnt 0xc06
	v_dual_mul_f32 v166, v83, v132 :: v_dual_mul_f32 v167, v85, v134
	s_wait_loadcnt_dscnt 0xa05
	v_dual_mul_f32 v130, v82, v132 :: v_dual_mul_f32 v169, v89, v138
	v_mul_f32_e32 v132, v84, v134
	v_mul_f32_e32 v168, v87, v136
	;; [unrolled: 1-line block ×4, first 2 shown]
	s_wait_loadcnt 0x9
	v_mul_f32_e32 v170, v91, v140
	v_mul_f32_e32 v138, v90, v140
	s_wait_loadcnt_dscnt 0x804
	v_mul_f32_e32 v171, v110, v142
	v_mul_f32_e32 v92, v109, v142
	s_wait_loadcnt_dscnt 0x602
	v_dual_mul_f32 v173, v114, v146 :: v_dual_mul_f32 v172, v112, v144
	s_wait_loadcnt_dscnt 0x401
	v_dual_mul_f32 v175, v118, v150 :: v_dual_mul_f32 v140, v111, v144
	s_wait_loadcnt_dscnt 0x200
	v_mul_f32_e32 v177, v122, v154
	v_mul_f32_e32 v142, v113, v146
	;; [unrolled: 1-line block ×8, first 2 shown]
	s_wait_loadcnt 0x1
	v_mul_f32_e32 v178, v124, v156
	v_mul_f32_e32 v152, v123, v156
	s_wait_loadcnt 0x0
	v_mul_f32_e32 v156, v160, v158
	v_mul_f32_e32 v154, v159, v158
	v_fma_f32 v161, v76, v125, -v161
	v_fmac_f32_e32 v162, v77, v125
	v_fma_f32 v125, v78, v127, -v164
	v_fmac_f32_e32 v126, v79, v127
	;; [unrolled: 2-line block ×17, first 2 shown]
	ds_store_2addr_b64 v108, v[161:162], v[125:126] offset1:28
	ds_store_2addr_b64 v108, v[127:128], v[129:130] offset0:56 offset1:84
	ds_store_2addr_b64 v108, v[131:132], v[133:134] offset0:112 offset1:140
	;; [unrolled: 1-line block ×7, first 2 shown]
	ds_store_b64 v108, v[153:154] offset:3584
.LBB0_9:
	s_wait_alu 0xfffe
	s_or_b32 exec_lo, exec_lo, s2
	global_wb scope:SCOPE_SE
	s_wait_dscnt 0x0
	s_barrier_signal -1
	s_barrier_wait -1
	global_inv scope:SCOPE_SE
	s_and_saveexec_b32 s0, vcc_lo
	s_cbranch_execz .LBB0_11
; %bb.10:
	v_add_nc_u32_e32 v0, 0x800, v108
	ds_load_2addr_b64 v[16:19], v108 offset1:28
	ds_load_2addr_b64 v[40:43], v108 offset0:56 offset1:84
	ds_load_2addr_b64 v[36:39], v108 offset0:112 offset1:140
	;; [unrolled: 1-line block ×7, first 2 shown]
	ds_load_b64 v[45:46], v108 offset:3584
.LBB0_11:
	s_wait_alu 0xfffe
	s_or_b32 exec_lo, exec_lo, s0
	v_add_nc_u32_e32 v113, 0x220, v75
	v_add_nc_u32_e32 v112, 0x330, v75
	;; [unrolled: 1-line block ×5, first 2 shown]
	global_wb scope:SCOPE_SE
	s_wait_dscnt 0x0
	s_barrier_signal -1
	s_barrier_wait -1
	global_inv scope:SCOPE_SE
	s_and_saveexec_b32 s0, vcc_lo
	s_cbranch_execz .LBB0_13
; %bb.12:
	v_dual_sub_f32 v119, v18, v45 :: v_dual_sub_f32 v116, v40, v2
	v_dual_add_f32 v144, v46, v19 :: v_dual_add_f32 v143, v3, v41
	v_dual_sub_f32 v114, v42, v0 :: v_dual_sub_f32 v115, v36, v22
	s_delay_alu instid0(VALU_DEP_3) | instskip(SKIP_1) | instid1(VALU_DEP_3)
	v_dual_mul_f32 v88, 0xbf763a35, v119 :: v_dual_add_f32 v139, v23, v37
	v_add_f32_e32 v142, v1, v43
	v_dual_mul_f32 v146, 0x3f2c7751, v114 :: v_dual_add_f32 v141, v27, v33
	s_delay_alu instid0(VALU_DEP_3) | instskip(SKIP_1) | instid1(VALU_DEP_3)
	v_fmamk_f32 v75, v144, 0xbe8c1d8e, v88
	v_mul_f32_e32 v92, 0x3f06c442, v116
	v_dual_add_f32 v122, v45, v18 :: v_dual_fmamk_f32 v77, v142, 0x3f3d2fb0, v146
	v_dual_sub_f32 v117, v38, v20 :: v_dual_add_f32 v140, v21, v39
	s_delay_alu instid0(VALU_DEP_3) | instskip(SKIP_2) | instid1(VALU_DEP_3)
	v_dual_add_f32 v75, v17, v75 :: v_dual_fmamk_f32 v76, v143, 0xbf59a7d5, v92
	v_dual_sub_f32 v118, v32, v26 :: v_dual_mul_f32 v149, 0xbf65296c, v115
	v_dual_sub_f32 v133, v19, v46 :: v_dual_sub_f32 v130, v41, v3
	v_dual_add_f32 v75, v76, v75 :: v_dual_mul_f32 v150, 0xbe3c28d5, v117
	s_delay_alu instid0(VALU_DEP_3) | instskip(NEXT) | instid1(VALU_DEP_4)
	v_dual_fmamk_f32 v76, v139, 0x3ee437d1, v149 :: v_dual_add_f32 v123, v2, v40
	v_dual_mul_f32 v151, 0x3f7ee86f, v118 :: v_dual_sub_f32 v120, v34, v24
	s_delay_alu instid0(VALU_DEP_3) | instskip(NEXT) | instid1(VALU_DEP_4)
	v_dual_add_f32 v75, v77, v75 :: v_dual_mul_f32 v152, 0xbf763a35, v133
	v_dual_fmamk_f32 v77, v140, 0xbf7ba420, v150 :: v_dual_sub_f32 v132, v37, v23
	v_dual_mul_f32 v87, 0x3f06c442, v130 :: v_dual_sub_f32 v134, v39, v21
	s_delay_alu instid0(VALU_DEP_3) | instskip(SKIP_3) | instid1(VALU_DEP_4)
	v_dual_add_f32 v75, v76, v75 :: v_dual_fmamk_f32 v76, v141, 0x3dbcf732, v151
	v_sub_f32_e32 v131, v43, v1
	v_fma_f32 v78, 0xbe8c1d8e, v122, -v152
	v_dual_add_f32 v124, v0, v42 :: v_dual_mul_f32 v89, 0xbeb8f4ab, v120
	v_add_f32_e32 v75, v77, v75
	v_fma_f32 v77, 0xbf59a7d5, v123, -v87
	s_delay_alu instid0(VALU_DEP_4) | instskip(SKIP_1) | instid1(VALU_DEP_4)
	v_add_f32_e32 v78, v16, v78
	v_dual_mul_f32 v90, 0x3f2c7751, v131 :: v_dual_add_f32 v125, v22, v36
	v_add_f32_e32 v75, v76, v75
	v_dual_add_f32 v137, v25, v35 :: v_dual_add_f32 v126, v20, v38
	s_delay_alu instid0(VALU_DEP_4) | instskip(NEXT) | instid1(VALU_DEP_4)
	v_add_f32_e32 v76, v77, v78
	v_fma_f32 v77, 0x3f3d2fb0, v124, -v90
	v_dual_mul_f32 v91, 0xbf65296c, v132 :: v_dual_add_f32 v138, v31, v29
	s_delay_alu instid0(VALU_DEP_4) | instskip(NEXT) | instid1(VALU_DEP_3)
	v_dual_fmamk_f32 v78, v137, 0x3f6eb680, v89 :: v_dual_sub_f32 v121, v28, v30
	v_add_f32_e32 v76, v77, v76
	s_delay_alu instid0(VALU_DEP_3) | instskip(SKIP_1) | instid1(VALU_DEP_4)
	v_fma_f32 v77, 0x3ee437d1, v125, -v91
	v_dual_mul_f32 v148, 0xbe3c28d5, v134 :: v_dual_sub_f32 v135, v33, v27
	v_add_f32_e32 v75, v78, v75
	s_delay_alu instid0(VALU_DEP_3) | instskip(NEXT) | instid1(VALU_DEP_3)
	v_dual_mul_f32 v147, 0xbf4c4adb, v121 :: v_dual_add_f32 v76, v77, v76
	v_fma_f32 v77, 0xbf7ba420, v126, -v148
	v_dual_mul_f32 v85, 0xbf4c4adb, v119 :: v_dual_add_f32 v128, v26, v32
	v_dual_mul_f32 v153, 0x3f7ee86f, v135 :: v_dual_sub_f32 v136, v35, v25
	s_delay_alu instid0(VALU_DEP_2) | instskip(SKIP_1) | instid1(VALU_DEP_3)
	v_dual_add_f32 v76, v77, v76 :: v_dual_fmamk_f32 v77, v144, 0xbf1a4643, v85
	v_dual_mul_f32 v86, 0x3f763a35, v116 :: v_dual_add_f32 v127, v24, v34
	v_fma_f32 v78, 0x3dbcf732, v128, -v153
	s_delay_alu instid0(VALU_DEP_3) | instskip(NEXT) | instid1(VALU_DEP_3)
	v_dual_mul_f32 v154, 0xbeb8f4ab, v136 :: v_dual_add_f32 v77, v17, v77
	v_fmamk_f32 v79, v143, 0xbe8c1d8e, v86
	v_dual_sub_f32 v145, v29, v31 :: v_dual_mul_f32 v158, 0xbf4c4adb, v133
	s_delay_alu instid0(VALU_DEP_4) | instskip(NEXT) | instid1(VALU_DEP_3)
	v_add_f32_e32 v78, v78, v76
	v_dual_fmamk_f32 v80, v138, 0xbf1a4643, v147 :: v_dual_add_f32 v77, v79, v77
	v_mul_f32_e32 v155, 0xbeb8f4ab, v114
	v_fma_f32 v81, 0x3f6eb680, v127, -v154
	v_mul_f32_e32 v156, 0xbf06c442, v115
	s_delay_alu instid0(VALU_DEP_4) | instskip(NEXT) | instid1(VALU_DEP_4)
	v_dual_add_f32 v76, v80, v75 :: v_dual_mul_f32 v157, 0x3f7ee86f, v117
	v_fmamk_f32 v79, v142, 0x3f6eb680, v155
	s_delay_alu instid0(VALU_DEP_3) | instskip(SKIP_1) | instid1(VALU_DEP_3)
	v_dual_add_f32 v75, v81, v78 :: v_dual_fmamk_f32 v78, v139, 0xbf59a7d5, v156
	v_add_f32_e32 v129, v30, v28
	v_dual_mul_f32 v84, 0x3f65296c, v116 :: v_dual_add_f32 v77, v79, v77
	v_fma_f32 v79, 0xbf1a4643, v122, -v158
	v_mul_f32_e32 v160, 0xbf4c4adb, v145
	v_mul_f32_e32 v161, 0x3f763a35, v130
	;; [unrolled: 1-line block ×4, first 2 shown]
	v_add_f32_e32 v79, v16, v79
	v_fma_f32 v81, 0xbf1a4643, v129, -v160
	v_fma_f32 v80, 0xbe8c1d8e, v123, -v161
	v_mul_f32_e32 v164, 0xbf06c442, v132
	v_mul_f32_e32 v166, 0x3f65296c, v121
	v_mul_f32_e32 v83, 0xbf06c442, v119
	v_add_f32_e32 v75, v81, v75
	v_fmamk_f32 v81, v143, 0x3ee437d1, v84
	v_mul_f32_e32 v159, 0xbf2c7751, v118
	v_dual_add_f32 v77, v78, v77 :: v_dual_fmamk_f32 v78, v140, 0x3dbcf732, v157
	v_add_f32_e32 v79, v80, v79
	v_fma_f32 v80, 0x3f6eb680, v124, -v163
	v_fmamk_f32 v82, v138, 0x3ee437d1, v166
	v_mul_f32_e32 v167, 0xbf2c7751, v135
	v_dual_add_f32 v77, v78, v77 :: v_dual_fmamk_f32 v78, v141, 0x3f3d2fb0, v159
	v_mul_f32_e32 v169, 0xbe3c28d5, v136
	v_dual_mul_f32 v186, 0x3f2c7751, v136 :: v_dual_mul_f32 v187, 0x3f2c7751, v115
	s_delay_alu instid0(VALU_DEP_3) | instskip(SKIP_1) | instid1(VALU_DEP_4)
	v_dual_mul_f32 v192, 0x3eb8f4ab, v130 :: v_dual_add_f32 v77, v78, v77
	v_fmamk_f32 v78, v137, 0xbf7ba420, v162
	v_fma_f32 v171, 0xbf7ba420, v127, -v169
	s_delay_alu instid0(VALU_DEP_4)
	v_fma_f32 v189, 0x3f3d2fb0, v127, -v186
	v_mul_f32_e32 v182, 0x3eb8f4ab, v116
	v_fma_f32 v194, 0x3f6eb680, v123, -v192
	v_dual_add_f32 v77, v78, v77 :: v_dual_add_f32 v78, v80, v79
	v_fma_f32 v79, 0xbf59a7d5, v125, -v164
	v_mul_f32_e32 v165, 0x3f7ee86f, v134
	v_fmamk_f32 v184, v143, 0x3f6eb680, v182
	v_mul_f32_e32 v172, 0xbeb8f4ab, v117
	v_dual_mul_f32 v174, 0x3f65296c, v145 :: v_dual_mul_f32 v175, 0x3f65296c, v130
	v_add_f32_e32 v78, v79, v78
	v_fma_f32 v79, 0x3dbcf732, v126, -v165
	v_mul_f32_e32 v173, 0xbe3c28d5, v118
	v_mul_f32_e32 v177, 0xbf7ee86f, v131
	v_fma_f32 v178, 0x3ee437d1, v129, -v174
	v_mul_f32_e32 v185, 0xbf06c442, v114
	v_add_f32_e32 v78, v79, v78
	v_fmamk_f32 v80, v144, 0xbf59a7d5, v83
	v_fma_f32 v79, 0x3f3d2fb0, v128, -v167
	v_fma_f32 v83, 0xbf59a7d5, v144, -v83
	v_mul_f32_e32 v195, 0xbf06c442, v131
	v_fma_f32 v85, 0xbf1a4643, v144, -v85
	s_delay_alu instid0(VALU_DEP_4) | instskip(SKIP_3) | instid1(VALU_DEP_4)
	v_dual_add_f32 v80, v17, v80 :: v_dual_add_f32 v79, v79, v78
	v_mul_f32_e32 v168, 0xbf7ee86f, v114
	v_add_f32_e32 v78, v82, v77
	v_fma_f32 v82, 0x3ee437d1, v123, -v175
	v_dual_add_f32 v80, v81, v80 :: v_dual_add_f32 v77, v171, v79
	s_delay_alu instid0(VALU_DEP_4) | instskip(SKIP_3) | instid1(VALU_DEP_4)
	v_fmamk_f32 v81, v142, 0x3dbcf732, v168
	v_mul_f32_e32 v171, 0xbf06c442, v133
	v_fma_f32 v84, 0x3ee437d1, v143, -v84
	v_fmac_f32_e32 v175, 0x3ee437d1, v123
	v_dual_add_f32 v77, v178, v77 :: v_dual_add_f32 v80, v81, v80
	v_mul_f32_e32 v170, 0x3f4c4adb, v115
	v_mul_f32_e32 v178, 0xbe3c28d5, v119
	v_mul_f32_e32 v180, 0xbeb8f4ab, v134
	v_fma_f32 v168, 0x3dbcf732, v142, -v168
	v_dual_mul_f32 v198, 0x3f65296c, v135 :: v_dual_add_f32 v85, v17, v85
	v_fmamk_f32 v81, v139, 0xbf1a4643, v170
	v_fma_f32 v155, 0x3f6eb680, v142, -v155
	v_fma_f32 v88, 0xbe8c1d8e, v144, -v88
	;; [unrolled: 1-line block ×4, first 2 shown]
	v_add_f32_e32 v79, v81, v80
	v_fma_f32 v81, 0xbf59a7d5, v122, -v171
	v_dual_mul_f32 v176, 0x3f2c7751, v120 :: v_dual_add_f32 v83, v17, v83
	v_mul_f32_e32 v190, 0xbf4c4adb, v117
	s_delay_alu instid0(VALU_DEP_3) | instskip(SKIP_1) | instid1(VALU_DEP_4)
	v_dual_add_f32 v88, v17, v88 :: v_dual_add_f32 v81, v16, v81
	v_fmamk_f32 v80, v140, 0x3f6eb680, v172
	v_add_f32_e32 v83, v84, v83
	v_fma_f32 v149, 0x3ee437d1, v139, -v149
	s_delay_alu instid0(VALU_DEP_4) | instskip(NEXT) | instid1(VALU_DEP_4)
	v_dual_add_f32 v88, v92, v88 :: v_dual_add_f32 v81, v82, v81
	v_dual_add_f32 v79, v80, v79 :: v_dual_fmamk_f32 v80, v141, 0xbf7ba420, v173
	v_fma_f32 v82, 0x3dbcf732, v124, -v177
	v_fma_f32 v92, 0x3f3d2fb0, v142, -v146
	v_fmac_f32_e32 v152, 0xbe8c1d8e, v122
	v_fma_f32 v89, 0x3f6eb680, v137, -v89
	v_dual_add_f32 v79, v80, v79 :: v_dual_fmamk_f32 v80, v137, 0x3f3d2fb0, v176
	s_delay_alu instid0(VALU_DEP_4) | instskip(SKIP_2) | instid1(VALU_DEP_4)
	v_add_f32_e32 v92, v92, v88
	v_fmac_f32_e32 v174, 0x3ee437d1, v129
	v_fmac_f32_e32 v186, 0x3f3d2fb0, v127
	v_dual_fmac_f32 v90, 0x3f3d2fb0, v124 :: v_dual_add_f32 v79, v80, v79
	v_add_f32_e32 v80, v82, v81
	v_fmamk_f32 v82, v144, 0xbf7ba420, v178
	v_fma_f32 v178, 0xbf7ba420, v144, -v178
	v_add_f32_e32 v92, v149, v92
	v_fma_f32 v149, 0xbf7ba420, v140, -v150
	v_add_f32_e32 v150, v16, v152
	v_add_f32_e32 v82, v17, v82
	v_dual_fmac_f32 v148, 0xbf7ba420, v126 :: v_dual_add_f32 v83, v168, v83
	v_fma_f32 v168, 0xbf1a4643, v139, -v170
	v_mul_f32_e32 v152, 0xbe8c1d8e, v142
	s_delay_alu instid0(VALU_DEP_4) | instskip(SKIP_1) | instid1(VALU_DEP_4)
	v_add_f32_e32 v82, v184, v82
	v_fmamk_f32 v184, v142, 0xbf59a7d5, v185
	v_dual_add_f32 v178, v17, v178 :: v_dual_add_f32 v83, v168, v83
	v_fma_f32 v168, 0x3f6eb680, v140, -v172
	v_fma_f32 v172, 0x3f3d2fb0, v137, -v176
	s_delay_alu instid0(VALU_DEP_4) | instskip(SKIP_4) | instid1(VALU_DEP_4)
	v_add_f32_e32 v82, v184, v82
	v_fmamk_f32 v184, v139, 0x3f3d2fb0, v187
	v_fmac_f32_e32 v163, 0x3f6eb680, v124
	v_add_f32_e32 v83, v168, v83
	v_fmac_f32_e32 v165, 0x3dbcf732, v126
	v_dual_fmac_f32 v161, 0xbe8c1d8e, v123 :: v_dual_add_f32 v82, v184, v82
	v_fmamk_f32 v184, v140, 0xbf1a4643, v190
	v_mul_f32_e32 v181, 0xbf763a35, v121
	v_fmac_f32_e32 v177, 0x3dbcf732, v124
	v_add_f32_e32 v19, v19, v17
	s_delay_alu instid0(VALU_DEP_4) | instskip(NEXT) | instid1(VALU_DEP_4)
	v_dual_fmac_f32 v87, 0xbf59a7d5, v123 :: v_dual_add_f32 v82, v184, v82
	v_fmamk_f32 v188, v138, 0xbe8c1d8e, v181
	v_mul_f32_e32 v179, 0x3f4c4adb, v132
	v_mul_f32_e32 v183, 0xbe3c28d5, v135
	s_delay_alu instid0(VALU_DEP_4) | instskip(SKIP_1) | instid1(VALU_DEP_4)
	v_dual_add_f32 v19, v41, v19 :: v_dual_add_f32 v150, v87, v150
	v_fmac_f32_e32 v153, 0x3dbcf732, v128
	v_fma_f32 v81, 0xbf1a4643, v125, -v179
	v_fmac_f32_e32 v167, 0x3f3d2fb0, v128
	s_delay_alu instid0(VALU_DEP_4) | instskip(NEXT) | instid1(VALU_DEP_3)
	v_dual_fmac_f32 v169, 0xbf7ba420, v127 :: v_dual_add_f32 v90, v90, v150
	v_dual_fmac_f32 v91, 0x3ee437d1, v125 :: v_dual_add_f32 v80, v81, v80
	v_fma_f32 v81, 0x3f6eb680, v126, -v180
	v_dual_fmac_f32 v171, 0xbf59a7d5, v122 :: v_dual_add_f32 v18, v18, v16
	s_delay_alu instid0(VALU_DEP_3) | instskip(SKIP_1) | instid1(VALU_DEP_4)
	v_add_f32_e32 v90, v91, v90
	v_mul_f32_e32 v200, 0x3eb8f4ab, v145
	v_add_f32_e32 v80, v81, v80
	v_fma_f32 v81, 0xbf7ba420, v128, -v183
	v_add_f32_e32 v171, v16, v171
	v_fma_f32 v168, 0xbf7ba420, v141, -v173
	v_add_f32_e32 v90, v148, v90
	v_mul_f32_e32 v148, 0x3ee437d1, v140
	v_dual_add_f32 v81, v81, v80 :: v_dual_add_f32 v80, v188, v79
	v_dual_mul_f32 v188, 0x3f65296c, v118 :: v_dual_add_f32 v171, v175, v171
	s_delay_alu instid0(VALU_DEP_2) | instskip(SKIP_1) | instid1(VALU_DEP_3)
	v_dual_add_f32 v168, v168, v83 :: v_dual_add_f32 v79, v189, v81
	v_mul_f32_e32 v189, 0xbf763a35, v145
	v_fmamk_f32 v184, v141, 0x3ee437d1, v188
	v_fma_f32 v182, 0x3f6eb680, v143, -v182
	v_mul_f32_e32 v193, 0xbf763a35, v120
	v_add_f32_e32 v171, v177, v171
	v_fma_f32 v196, 0xbe8c1d8e, v129, -v189
	v_add_f32_e32 v82, v184, v82
	v_add_f32_e32 v178, v182, v178
	v_fmamk_f32 v184, v137, 0xbe8c1d8e, v193
	v_mul_f32_e32 v81, 0xbe3c28d5, v133
	v_dual_add_f32 v79, v196, v79 :: v_dual_mul_f32 v196, 0x3f7ee86f, v121
	v_add_f32_e32 v168, v172, v168
	s_delay_alu instid0(VALU_DEP_4) | instskip(NEXT) | instid1(VALU_DEP_4)
	v_add_f32_e32 v82, v184, v82
	v_fma_f32 v191, 0xbf7ba420, v122, -v81
	v_fma_f32 v172, 0xbe8c1d8e, v143, -v86
	v_fmamk_f32 v199, v138, 0x3dbcf732, v196
	v_mul_f32_e32 v197, 0x3f2c7751, v132
	v_fmac_f32_e32 v192, 0x3f6eb680, v123
	v_add_f32_e32 v191, v16, v191
	s_delay_alu instid0(VALU_DEP_4) | instskip(SKIP_2) | instid1(VALU_DEP_4)
	v_dual_add_f32 v85, v172, v85 :: v_dual_add_f32 v82, v199, v82
	v_fmac_f32_e32 v179, 0xbf1a4643, v125
	v_fmac_f32_e32 v183, 0xbf7ba420, v128
	v_add_f32_e32 v191, v194, v191
	v_fma_f32 v194, 0xbf59a7d5, v124, -v195
	v_add_f32_e32 v85, v155, v85
	v_fma_f32 v155, 0xbf59a7d5, v139, -v156
	v_fmac_f32_e32 v189, 0xbe8c1d8e, v129
	s_delay_alu instid0(VALU_DEP_4) | instskip(SKIP_4) | instid1(VALU_DEP_4)
	v_dual_mul_f32 v173, 0x3dbcf732, v137 :: v_dual_add_f32 v184, v194, v191
	v_fma_f32 v191, 0x3f3d2fb0, v125, -v197
	v_mul_f32_e32 v194, 0xbf4c4adb, v134
	v_fma_f32 v182, 0xbf59a7d5, v142, -v185
	v_fma_f32 v185, 0x3ee437d1, v128, -v198
	v_dual_fmac_f32 v197, 0x3f3d2fb0, v125 :: v_dual_add_f32 v184, v191, v184
	s_delay_alu instid0(VALU_DEP_4) | instskip(NEXT) | instid1(VALU_DEP_4)
	v_fma_f32 v191, 0xbf1a4643, v126, -v194
	v_add_f32_e32 v178, v182, v178
	v_fma_f32 v182, 0x3f3d2fb0, v139, -v187
	v_mul_f32_e32 v187, 0x3f7ee86f, v145
	v_fmac_f32_e32 v195, 0xbf59a7d5, v124
	v_add_f32_e32 v184, v191, v184
	s_delay_alu instid0(VALU_DEP_4) | instskip(SKIP_2) | instid1(VALU_DEP_4)
	v_dual_mul_f32 v191, 0xbf763a35, v136 :: v_dual_add_f32 v178, v182, v178
	v_fma_f32 v182, 0xbf1a4643, v140, -v190
	v_dual_fmac_f32 v194, 0xbf1a4643, v126 :: v_dual_add_f32 v155, v155, v85
	v_add_f32_e32 v184, v185, v184
	s_delay_alu instid0(VALU_DEP_4) | instskip(SKIP_3) | instid1(VALU_DEP_4)
	v_fma_f32 v185, 0xbe8c1d8e, v127, -v191
	v_fmac_f32_e32 v81, 0xbf7ba420, v122
	v_dual_fmac_f32 v191, 0xbe8c1d8e, v127 :: v_dual_add_f32 v178, v182, v178
	v_dual_fmac_f32 v198, 0x3ee437d1, v128 :: v_dual_add_f32 v155, v157, v155
	v_add_f32_e32 v184, v185, v184
	v_fma_f32 v185, 0x3dbcf732, v129, -v187
	v_add_f32_e32 v190, v16, v81
	v_fmac_f32_e32 v187, 0x3dbcf732, v129
	v_fma_f32 v182, 0x3ee437d1, v141, -v188
	v_fma_f32 v157, 0x3f3d2fb0, v141, -v159
	s_delay_alu instid0(VALU_DEP_4) | instskip(SKIP_1) | instid1(VALU_DEP_4)
	v_dual_add_f32 v81, v185, v184 :: v_dual_add_f32 v184, v192, v190
	v_fmac_f32_e32 v180, 0x3f6eb680, v126
	v_add_f32_e32 v178, v182, v178
	v_fma_f32 v182, 0xbe8c1d8e, v137, -v193
	v_mul_f32_e32 v159, 0x3ee437d1, v144
	v_add_f32_e32 v184, v195, v184
	v_add_f32_e32 v92, v149, v92
	v_fma_f32 v149, 0x3dbcf732, v141, -v151
	v_dual_add_f32 v178, v182, v178 :: v_dual_add_f32 v155, v157, v155
	s_delay_alu instid0(VALU_DEP_4)
	v_add_f32_e32 v184, v197, v184
	v_fma_f32 v157, 0xbf7ba420, v137, -v162
	v_mul_f32_e32 v162, 0xbf1a4643, v143
	v_add_f32_e32 v92, v149, v92
	v_fmac_f32_e32 v158, 0xbf1a4643, v122
	v_add_f32_e32 v170, v194, v184
	v_mul_f32_e32 v151, 0x3dbcf732, v144
	v_mul_f32_e32 v149, 0xbf7ba420, v143
	s_delay_alu instid0(VALU_DEP_4) | instskip(NEXT) | instid1(VALU_DEP_4)
	v_dual_add_f32 v89, v89, v92 :: v_dual_add_f32 v158, v16, v158
	v_dual_add_f32 v170, v198, v170 :: v_dual_add_f32 v155, v157, v155
	v_fmamk_f32 v92, v114, 0xbf763a35, v152
	v_mul_f32_e32 v157, 0x3f3d2fb0, v138
	s_delay_alu instid0(VALU_DEP_4) | instskip(NEXT) | instid1(VALU_DEP_4)
	v_add_f32_e32 v158, v161, v158
	v_dual_add_f32 v170, v191, v170 :: v_dual_mul_f32 v161, 0x3eb8f4ab, v132
	v_mul_f32_e32 v191, 0xbf7ee86f, v130
	v_mul_f32_e32 v194, 0xbf4c4adb, v131
	s_delay_alu instid0(VALU_DEP_3)
	v_dual_mul_f32 v188, 0xbe8c1d8e, v141 :: v_dual_add_f32 v83, v187, v170
	v_fma_f32 v182, 0x3dbcf732, v138, -v196
	v_add_f32_e32 v170, v179, v171
	v_fma_f32 v171, 0xbe8c1d8e, v138, -v181
	v_mul_f32_e32 v179, 0x3dbcf732, v143
	v_mul_f32_e32 v196, 0xbe3c28d5, v132
	v_add_f32_e32 v84, v182, v178
	v_add_f32_e32 v170, v180, v170
	s_delay_alu instid0(VALU_DEP_4) | instskip(SKIP_2) | instid1(VALU_DEP_4)
	v_dual_add_f32 v86, v171, v168 :: v_dual_fmamk_f32 v181, v116, 0x3f7ee86f, v179
	v_mul_f32_e32 v184, 0xbf7ba420, v139
	v_mul_f32_e32 v176, 0x3e3c28d5, v131
	v_add_f32_e32 v168, v183, v170
	v_mul_f32_e32 v170, 0x3f6eb680, v141
	v_mul_f32_e32 v183, 0xbeb8f4ab, v135
	v_fmac_f32_e32 v154, 0x3f6eb680, v127
	v_mul_f32_e32 v178, 0x3f763a35, v132
	v_add_f32_e32 v156, v186, v168
	v_fmamk_f32 v172, v118, 0x3eb8f4ab, v170
	v_mul_f32_e32 v186, 0xbf59a7d5, v140
	v_fmamk_f32 v193, v123, 0x3dbcf732, v191
	s_delay_alu instid0(VALU_DEP_4)
	v_dual_mul_f32 v180, 0x3f2c7751, v134 :: v_dual_add_f32 v85, v189, v156
	v_dual_add_f32 v156, v163, v158 :: v_dual_fmamk_f32 v163, v116, 0x3f4c4adb, v162
	v_fmamk_f32 v150, v116, 0x3e3c28d5, v149
	v_fmac_f32_e32 v164, 0xbf59a7d5, v125
	v_mul_f32_e32 v168, 0x3f3d2fb0, v140
	v_mul_f32_e32 v189, 0xbf2c7751, v133
	;; [unrolled: 1-line block ×4, first 2 shown]
	v_add_f32_e32 v156, v164, v156
	v_mul_f32_e32 v164, 0xbf7ba420, v142
	v_mul_f32_e32 v171, 0xbf65296c, v133
	v_mul_f32_e32 v187, 0xbf06c442, v145
	v_mul_f32_e32 v182, 0xbf1a4643, v142
	v_add_f32_e32 v146, v165, v156
	v_fma_f32 v156, 0x3ee437d1, v138, -v166
	v_mul_f32_e32 v165, 0xbf06c442, v135
	v_mul_f32_e32 v166, 0xbe8c1d8e, v139
	;; [unrolled: 1-line block ×3, first 2 shown]
	v_add_f32_e32 v146, v167, v146
	v_dual_add_f32 v88, v156, v155 :: v_dual_mul_f32 v155, 0xbf1a4643, v137
	v_mul_f32_e32 v167, 0x3f4c4adb, v136
	v_fmac_f32_e32 v160, 0xbf1a4643, v129
	s_delay_alu instid0(VALU_DEP_4) | instskip(SKIP_3) | instid1(VALU_DEP_4)
	v_add_f32_e32 v146, v169, v146
	v_mul_f32_e32 v156, 0xbe3c28d5, v130
	v_dual_mul_f32 v169, 0x3f2c7751, v145 :: v_dual_add_f32 v18, v40, v18
	v_mul_f32_e32 v185, 0xbf7ee86f, v136
	v_dual_add_f32 v87, v174, v146 :: v_dual_fmamk_f32 v146, v119, 0x3f7ee86f, v151
	v_mul_f32_e32 v174, 0xbf4c4adb, v130
	s_delay_alu instid0(VALU_DEP_4) | instskip(SKIP_1) | instid1(VALU_DEP_3)
	v_add_f32_e32 v18, v42, v18
	v_dual_mul_f32 v192, 0x3f6eb680, v138 :: v_dual_mul_f32 v195, 0x3f6eb680, v144
	v_dual_add_f32 v146, v17, v146 :: v_dual_fmamk_f32 v175, v123, 0xbf1a4643, v174
	s_delay_alu instid0(VALU_DEP_3) | instskip(SKIP_1) | instid1(VALU_DEP_3)
	v_dual_mul_f32 v177, 0x3f3d2fb0, v144 :: v_dual_add_f32 v18, v36, v18
	v_mul_f32_e32 v40, 0xbf2c7751, v130
	v_dual_add_f32 v91, v150, v146 :: v_dual_mul_f32 v150, 0x3f6eb680, v139
	v_fma_f32 v146, 0xbf1a4643, v138, -v147
	v_add_f32_e32 v147, v153, v90
	v_mul_f32_e32 v153, 0xbf59a7d5, v141
	s_delay_alu instid0(VALU_DEP_4) | instskip(NEXT) | instid1(VALU_DEP_4)
	v_dual_add_f32 v91, v92, v91 :: v_dual_fmamk_f32 v92, v115, 0xbeb8f4ab, v150
	v_dual_add_f32 v90, v146, v89 :: v_dual_add_f32 v19, v43, v19
	s_delay_alu instid0(VALU_DEP_3) | instskip(NEXT) | instid1(VALU_DEP_3)
	v_fmamk_f32 v146, v118, 0x3f06c442, v153
	v_dual_add_f32 v18, v38, v18 :: v_dual_add_f32 v89, v92, v91
	v_dual_fmamk_f32 v91, v117, 0x3f65296c, v148 :: v_dual_add_f32 v92, v154, v147
	v_mul_f32_e32 v154, 0xbf7ee86f, v133
	v_fmamk_f32 v147, v123, 0xbf7ba420, v156
	s_delay_alu instid0(VALU_DEP_4) | instskip(NEXT) | instid1(VALU_DEP_4)
	v_dual_mul_f32 v139, 0x3dbcf732, v139 :: v_dual_add_f32 v18, v32, v18
	v_add_f32_e32 v91, v91, v89
	s_delay_alu instid0(VALU_DEP_4) | instskip(SKIP_1) | instid1(VALU_DEP_3)
	v_dual_add_f32 v89, v160, v92 :: v_dual_fmamk_f32 v92, v122, 0x3dbcf732, v154
	v_fmamk_f32 v160, v124, 0xbe8c1d8e, v158
	v_dual_mul_f32 v32, 0xbf763a35, v134 :: v_dual_add_f32 v91, v146, v91
	v_fmamk_f32 v146, v120, 0xbf4c4adb, v155
	s_delay_alu instid0(VALU_DEP_4) | instskip(SKIP_2) | instid1(VALU_DEP_4)
	v_dual_add_f32 v92, v16, v92 :: v_dual_add_f32 v19, v37, v19
	v_fmac_f32_e32 v153, 0xbf06c442, v118
	v_fmamk_f32 v37, v123, 0x3f3d2fb0, v40
	v_dual_add_f32 v91, v146, v91 :: v_dual_fmamk_f32 v146, v121, 0xbf2c7751, v157
	s_delay_alu instid0(VALU_DEP_4) | instskip(SKIP_2) | instid1(VALU_DEP_4)
	v_add_f32_e32 v147, v147, v92
	v_dual_add_f32 v19, v39, v19 :: v_dual_fmac_f32 v162, 0xbf4c4adb, v116
	v_mul_f32_e32 v142, 0x3ee437d1, v142
	v_dual_add_f32 v92, v146, v91 :: v_dual_fmamk_f32 v91, v119, 0x3f65296c, v159
	s_delay_alu instid0(VALU_DEP_4) | instskip(SKIP_2) | instid1(VALU_DEP_4)
	v_dual_add_f32 v146, v160, v147 :: v_dual_fmamk_f32 v147, v125, 0x3f6eb680, v161
	v_mul_f32_e32 v160, 0xbf65296c, v134
	v_fmac_f32_e32 v149, 0xbe3c28d5, v116
	v_add_f32_e32 v91, v17, v91
	s_delay_alu instid0(VALU_DEP_4) | instskip(NEXT) | instid1(VALU_DEP_4)
	v_dual_mul_f32 v141, 0xbf1a4643, v141 :: v_dual_add_f32 v146, v147, v146
	v_fmamk_f32 v147, v126, 0x3ee437d1, v160
	v_mul_f32_e32 v133, 0xbeb8f4ab, v133
	s_delay_alu instid0(VALU_DEP_4)
	v_add_f32_e32 v91, v163, v91
	v_fmamk_f32 v163, v114, 0xbe3c28d5, v164
	v_mul_f32_e32 v42, 0xbf65296c, v131
	v_mul_f32_e32 v39, 0xbf7ee86f, v132
	v_fmac_f32_e32 v155, 0x3f4c4adb, v120
	v_fmac_f32_e32 v151, 0xbf7ee86f, v119
	v_add_f32_e32 v91, v163, v91
	v_fmamk_f32 v163, v115, 0xbf763a35, v166
	v_dual_fmac_f32 v157, 0x3f2c7751, v121 :: v_dual_add_f32 v18, v34, v18
	s_delay_alu instid0(VALU_DEP_2) | instskip(SKIP_2) | instid1(VALU_DEP_2)
	v_dual_fmac_f32 v152, 0x3f763a35, v114 :: v_dual_add_f32 v91, v163, v91
	v_dual_fmamk_f32 v163, v117, 0xbf2c7751, v168 :: v_dual_add_f32 v146, v147, v146
	v_fmamk_f32 v147, v128, 0xbf59a7d5, v165
	v_dual_add_f32 v18, v28, v18 :: v_dual_add_f32 v163, v163, v91
	s_delay_alu instid0(VALU_DEP_2) | instskip(NEXT) | instid1(VALU_DEP_2)
	v_add_f32_e32 v146, v147, v146
	v_dual_fmamk_f32 v147, v127, 0xbf1a4643, v167 :: v_dual_add_f32 v18, v30, v18
	v_mul_f32_e32 v199, 0x3f65296c, v136
	v_mul_f32_e32 v30, 0xbe3c28d5, v145
	s_delay_alu instid0(VALU_DEP_3) | instskip(NEXT) | instid1(VALU_DEP_4)
	v_dual_add_f32 v146, v147, v146 :: v_dual_fmamk_f32 v147, v129, 0x3f3d2fb0, v169
	v_add_f32_e32 v18, v24, v18
	s_delay_alu instid0(VALU_DEP_2)
	v_dual_add_f32 v24, v17, v151 :: v_dual_add_f32 v91, v147, v146
	v_add_f32_e32 v147, v172, v163
	v_fmamk_f32 v163, v120, 0x3f7ee86f, v173
	v_mul_f32_e32 v172, 0xbf59a7d5, v138
	v_fmac_f32_e32 v150, 0x3eb8f4ab, v115
	v_dual_mul_f32 v43, 0xbf59a7d5, v137 :: v_dual_add_f32 v18, v26, v18
	s_delay_alu instid0(VALU_DEP_4) | instskip(NEXT) | instid1(VALU_DEP_4)
	v_add_f32_e32 v147, v163, v147
	v_fmamk_f32 v163, v121, 0x3f06c442, v172
	v_fmac_f32_e32 v148, 0xbf65296c, v117
	s_delay_alu instid0(VALU_DEP_4) | instskip(SKIP_1) | instid1(VALU_DEP_4)
	v_fmamk_f32 v131, v120, 0x3f06c442, v43
	v_add_f32_e32 v20, v20, v18
	v_dual_fmamk_f32 v26, v129, 0xbf7ba420, v30 :: v_dual_add_f32 v147, v163, v147
	s_delay_alu instid0(VALU_DEP_2) | instskip(NEXT) | instid1(VALU_DEP_1)
	v_dual_fmamk_f32 v163, v119, 0x3f2c7751, v177 :: v_dual_add_f32 v20, v22, v20
	v_dual_add_f32 v163, v17, v163 :: v_dual_add_f32 v0, v0, v20
	s_delay_alu instid0(VALU_DEP_1) | instskip(SKIP_1) | instid1(VALU_DEP_1)
	v_add_f32_e32 v163, v181, v163
	v_fmamk_f32 v181, v114, 0x3f4c4adb, v182
	v_dual_add_f32 v0, v2, v0 :: v_dual_add_f32 v163, v181, v163
	s_delay_alu instid0(VALU_DEP_1) | instskip(NEXT) | instid1(VALU_DEP_1)
	v_dual_fmamk_f32 v181, v115, 0x3e3c28d5, v184 :: v_dual_add_f32 v0, v45, v0
	v_add_f32_e32 v163, v181, v163
	v_fmamk_f32 v181, v117, 0xbf06c442, v186
	s_delay_alu instid0(VALU_DEP_1) | instskip(SKIP_1) | instid1(VALU_DEP_1)
	v_dual_fmac_f32 v170, 0xbeb8f4ab, v118 :: v_dual_add_f32 v163, v181, v163
	v_fmamk_f32 v181, v118, 0xbf763a35, v188
	v_dual_fmamk_f32 v146, v122, 0x3ee437d1, v171 :: v_dual_add_f32 v163, v181, v163
	s_delay_alu instid0(VALU_DEP_1) | instskip(NEXT) | instid1(VALU_DEP_1)
	v_add_f32_e32 v146, v16, v146
	v_dual_fmamk_f32 v181, v120, 0xbf65296c, v190 :: v_dual_add_f32 v146, v175, v146
	v_fmamk_f32 v175, v124, 0xbf7ba420, v176
	s_delay_alu instid0(VALU_DEP_2) | instskip(SKIP_2) | instid1(VALU_DEP_4)
	v_add_f32_e32 v163, v181, v163
	v_fmamk_f32 v181, v121, 0xbeb8f4ab, v192
	v_dual_add_f32 v19, v33, v19 :: v_dual_fmac_f32 v164, 0x3e3c28d5, v114
	v_dual_add_f32 v146, v175, v146 :: v_dual_fmamk_f32 v175, v125, 0xbe8c1d8e, v178
	s_delay_alu instid0(VALU_DEP_3) | instskip(SKIP_1) | instid1(VALU_DEP_3)
	v_dual_add_f32 v144, v181, v163 :: v_dual_fmamk_f32 v163, v119, 0x3eb8f4ab, v195
	v_mul_f32_e32 v181, 0x3f3d2fb0, v143
	v_dual_fmac_f32 v177, 0xbf2c7751, v119 :: v_dual_add_f32 v146, v175, v146
	v_fmamk_f32 v175, v126, 0x3f3d2fb0, v180
	s_delay_alu instid0(VALU_DEP_4) | instskip(NEXT) | instid1(VALU_DEP_4)
	v_add_f32_e32 v163, v17, v163
	v_fmamk_f32 v197, v116, 0x3f2c7751, v181
	v_dual_add_f32 v19, v35, v19 :: v_dual_fmac_f32 v168, 0x3f2c7751, v117
	s_delay_alu instid0(VALU_DEP_4) | instskip(NEXT) | instid1(VALU_DEP_3)
	v_dual_add_f32 v146, v175, v146 :: v_dual_fmamk_f32 v175, v128, 0x3f6eb680, v183
	v_add_f32_e32 v163, v197, v163
	s_delay_alu instid0(VALU_DEP_3) | instskip(SKIP_1) | instid1(VALU_DEP_4)
	v_add_f32_e32 v19, v29, v19
	v_fmamk_f32 v29, v126, 0xbe8c1d8e, v32
	v_dual_fmamk_f32 v197, v114, 0x3f65296c, v142 :: v_dual_add_f32 v146, v175, v146
	v_fmamk_f32 v175, v127, 0x3dbcf732, v185
	s_delay_alu instid0(VALU_DEP_4) | instskip(NEXT) | instid1(VALU_DEP_3)
	v_dual_add_f32 v31, v31, v19 :: v_dual_fmac_f32 v188, 0x3f763a35, v118
	v_add_f32_e32 v163, v197, v163
	v_fmamk_f32 v197, v115, 0x3f7ee86f, v139
	s_delay_alu instid0(VALU_DEP_4) | instskip(NEXT) | instid1(VALU_DEP_4)
	v_dual_add_f32 v146, v175, v146 :: v_dual_fmamk_f32 v175, v129, 0xbf59a7d5, v187
	v_add_f32_e32 v25, v25, v31
	v_mul_f32_e32 v34, 0xbf4c4adb, v135
	s_delay_alu instid0(VALU_DEP_4) | instskip(NEXT) | instid1(VALU_DEP_4)
	v_add_f32_e32 v163, v197, v163
	v_dual_fmamk_f32 v197, v117, 0x3f763a35, v140 :: v_dual_add_f32 v146, v175, v146
	s_delay_alu instid0(VALU_DEP_4) | instskip(SKIP_2) | instid1(VALU_DEP_4)
	v_add_f32_e32 v25, v27, v25
	v_fmac_f32_e32 v179, 0xbf7ee86f, v116
	v_fmac_f32_e32 v195, 0xbeb8f4ab, v119
	v_add_f32_e32 v163, v197, v163
	v_fmamk_f32 v197, v118, 0x3f4c4adb, v141
	v_add_f32_e32 v21, v21, v25
	v_fmac_f32_e32 v139, 0xbf7ee86f, v115
	v_fmac_f32_e32 v192, 0x3eb8f4ab, v121
	s_delay_alu instid0(VALU_DEP_4) | instskip(SKIP_3) | instid1(VALU_DEP_4)
	v_dual_fmac_f32 v172, 0xbf06c442, v121 :: v_dual_add_f32 v41, v197, v163
	v_fmamk_f32 v163, v122, 0x3f6eb680, v133
	v_fmamk_f32 v175, v122, 0x3f3d2fb0, v189
	v_mul_f32_e32 v198, 0x3f763a35, v135
	v_dual_fmac_f32 v166, 0x3f763a35, v115 :: v_dual_add_f32 v33, v131, v41
	s_delay_alu instid0(VALU_DEP_4) | instskip(NEXT) | instid1(VALU_DEP_1)
	v_add_f32_e32 v130, v16, v163
	v_dual_add_f32 v175, v16, v175 :: v_dual_add_f32 v36, v37, v130
	s_delay_alu instid0(VALU_DEP_1) | instskip(SKIP_4) | instid1(VALU_DEP_4)
	v_add_f32_e32 v175, v193, v175
	v_fmamk_f32 v193, v124, 0xbf1a4643, v194
	v_fmamk_f32 v37, v124, 0x3ee437d1, v42
	v_dual_add_f32 v21, v23, v21 :: v_dual_fmac_f32 v182, 0xbf4c4adb, v114
	v_fmac_f32_e32 v181, 0xbf2c7751, v116
	v_add_f32_e32 v143, v193, v175
	v_fmamk_f32 v175, v125, 0xbf7ba420, v196
	v_add_f32_e32 v36, v37, v36
	v_fmamk_f32 v37, v125, 0x3dbcf732, v39
	v_mul_f32_e32 v193, 0x3f06c442, v134
	v_fmac_f32_e32 v184, 0xbe3c28d5, v115
	v_dual_add_f32 v143, v175, v143 :: v_dual_add_f32 v24, v149, v24
	s_delay_alu instid0(VALU_DEP_3) | instskip(SKIP_2) | instid1(VALU_DEP_4)
	v_dual_add_f32 v36, v37, v36 :: v_dual_fmamk_f32 v175, v126, 0xbf59a7d5, v193
	v_add_f32_e32 v1, v1, v21
	v_fma_f32 v21, 0x3dbcf732, v122, -v154
	v_dual_add_f32 v23, v152, v24 :: v_dual_fmac_f32 v186, 0x3f06c442, v117
	s_delay_alu instid0(VALU_DEP_4) | instskip(SKIP_1) | instid1(VALU_DEP_3)
	v_add_f32_e32 v143, v175, v143
	v_fmamk_f32 v175, v128, 0xbe8c1d8e, v198
	v_dual_add_f32 v1, v3, v1 :: v_dual_add_f32 v22, v150, v23
	v_add_f32_e32 v3, v16, v21
	v_fma_f32 v21, 0xbf7ba420, v123, -v156
	s_delay_alu instid0(VALU_DEP_4) | instskip(NEXT) | instid1(VALU_DEP_4)
	v_add_f32_e32 v143, v175, v143
	v_dual_fmamk_f32 v175, v127, 0x3ee437d1, v199 :: v_dual_add_f32 v20, v148, v22
	v_fma_f32 v22, 0x3ee437d1, v122, -v171
	s_delay_alu instid0(VALU_DEP_4) | instskip(SKIP_1) | instid1(VALU_DEP_4)
	v_add_f32_e32 v3, v21, v3
	v_fma_f32 v21, 0xbe8c1d8e, v124, -v158
	v_add_f32_e32 v143, v175, v143
	v_fmamk_f32 v175, v129, 0x3f6eb680, v200
	v_add_f32_e32 v2, v153, v20
	v_fma_f32 v20, 0x3f6eb680, v125, -v161
	v_dual_add_f32 v3, v21, v3 :: v_dual_fmac_f32 v142, 0xbf65296c, v114
	v_add_f32_e32 v22, v16, v22
	v_fma_f32 v23, 0xbf1a4643, v123, -v174
	s_delay_alu instid0(VALU_DEP_3) | instskip(SKIP_2) | instid1(VALU_DEP_4)
	v_dual_add_f32 v2, v155, v2 :: v_dual_add_f32 v3, v20, v3
	v_fma_f32 v20, 0x3ee437d1, v126, -v160
	v_fma_f32 v24, 0xbf1a4643, v127, -v167
	v_add_f32_e32 v22, v23, v22
	v_fma_f32 v23, 0xbf7ba420, v124, -v176
	s_delay_alu instid0(VALU_DEP_4) | instskip(SKIP_3) | instid1(VALU_DEP_3)
	v_dual_fmac_f32 v140, 0xbf763a35, v117 :: v_dual_add_f32 v3, v20, v3
	v_fma_f32 v20, 0xbf59a7d5, v128, -v165
	v_dual_add_f32 v143, v175, v143 :: v_dual_fmac_f32 v190, 0x3f65296c, v120
	v_fmac_f32_e32 v141, 0xbf4c4adb, v118
	v_dual_fmac_f32 v43, 0xbf06c442, v120 :: v_dual_add_f32 v20, v20, v3
	v_mul_f32_e32 v35, 0xbf7ba420, v138
	s_delay_alu instid0(VALU_DEP_2) | instskip(SKIP_2) | instid1(VALU_DEP_4)
	v_dual_add_f32 v3, v157, v2 :: v_dual_add_f32 v2, v24, v20
	v_add_f32_e32 v20, v23, v22
	v_fma_f32 v22, 0xbe8c1d8e, v125, -v178
	v_fmamk_f32 v37, v121, 0x3e3c28d5, v35
	v_dual_add_f32 v28, v29, v36 :: v_dual_fmamk_f32 v29, v128, 0xbf1a4643, v34
	v_add_f32_e32 v24, v17, v177
	s_delay_alu instid0(VALU_DEP_4) | instskip(SKIP_4) | instid1(VALU_DEP_4)
	v_add_f32_e32 v20, v22, v20
	v_fma_f32 v22, 0x3f3d2fb0, v126, -v180
	v_fma_f32 v23, 0x3f3d2fb0, v129, -v169
	v_add_f32_e32 v28, v29, v28
	v_mul_f32_e32 v29, 0xbf06c442, v136
	v_dual_add_f32 v19, v37, v33 :: v_dual_add_f32 v20, v22, v20
	v_fma_f32 v22, 0x3f6eb680, v128, -v183
	v_add_f32_e32 v2, v23, v2
	s_delay_alu instid0(VALU_DEP_4)
	v_fmamk_f32 v27, v127, 0xbf59a7d5, v29
	v_add_f32_e32 v23, v179, v24
	v_fma_f32 v24, 0x3f3d2fb0, v122, -v189
	v_add_f32_e32 v20, v22, v20
	v_fma_f32 v22, 0x3dbcf732, v127, -v185
	v_add_f32_e32 v25, v27, v28
	v_fmac_f32_e32 v35, 0xbe3c28d5, v121
	v_fma_f32 v28, 0xbf7ba420, v129, -v30
	s_delay_alu instid0(VALU_DEP_4)
	v_add_f32_e32 v20, v22, v20
	v_add_f32_e32 v22, v16, v24
	v_fma_f32 v24, 0x3dbcf732, v123, -v191
	v_add_f32_e32 v18, v26, v25
	v_add_f32_e32 v1, v46, v1
	v_fma_f32 v25, 0xbf59a7d5, v129, -v187
	v_fma_f32 v26, 0x3f6eb680, v129, -v200
	v_add_f32_e32 v22, v24, v22
	v_fma_f32 v24, 0xbf1a4643, v124, -v194
	s_delay_alu instid0(VALU_DEP_4) | instskip(SKIP_1) | instid1(VALU_DEP_3)
	v_add_f32_e32 v20, v25, v20
	v_fma_f32 v25, 0x3f6eb680, v122, -v133
	v_add_f32_e32 v22, v24, v22
	v_fma_f32 v24, 0xbf7ba420, v125, -v196
	s_delay_alu instid0(VALU_DEP_3) | instskip(SKIP_1) | instid1(VALU_DEP_2)
	v_dual_fmac_f32 v159, 0xbf65296c, v119 :: v_dual_add_f32 v16, v16, v25
	v_fma_f32 v25, 0xbf59a7d5, v126, -v193
	v_dual_add_f32 v22, v24, v22 :: v_dual_add_f32 v21, v17, v159
	v_fma_f32 v24, 0x3f3d2fb0, v123, -v40
	v_add_f32_e32 v17, v17, v195
	s_delay_alu instid0(VALU_DEP_3) | instskip(SKIP_1) | instid1(VALU_DEP_4)
	v_add_f32_e32 v22, v25, v22
	v_fma_f32 v25, 0xbe8c1d8e, v128, -v198
	v_add_f32_e32 v16, v24, v16
	v_fma_f32 v24, 0x3ee437d1, v124, -v42
	v_add_f32_e32 v21, v162, v21
	v_add_f32_e32 v17, v181, v17
	;; [unrolled: 1-line block ×3, first 2 shown]
	v_fma_f32 v25, 0x3ee437d1, v127, -v199
	v_add_f32_e32 v16, v24, v16
	v_add_f32_e32 v21, v164, v21
	v_fma_f32 v24, 0x3dbcf732, v125, -v39
	s_delay_alu instid0(VALU_DEP_4) | instskip(SKIP_1) | instid1(VALU_DEP_3)
	v_dual_add_f32 v17, v142, v17 :: v_dual_add_f32 v22, v25, v22
	v_mul_lo_u16 v25, v97, 17
	v_dual_add_f32 v21, v166, v21 :: v_dual_add_f32 v16, v24, v16
	v_fma_f32 v24, 0xbe8c1d8e, v126, -v32
	s_delay_alu instid0(VALU_DEP_4) | instskip(SKIP_1) | instid1(VALU_DEP_4)
	v_add_f32_e32 v17, v139, v17
	v_fmac_f32_e32 v173, 0xbf7ee86f, v120
	v_add_f32_e32 v21, v168, v21
	s_delay_alu instid0(VALU_DEP_4) | instskip(SKIP_2) | instid1(VALU_DEP_4)
	v_dual_add_f32 v16, v24, v16 :: v_dual_and_b32 v25, 0xffff, v25
	v_fma_f32 v24, 0xbf1a4643, v128, -v34
	v_add_f32_e32 v17, v140, v17
	v_add_f32_e32 v21, v170, v21
	s_delay_alu instid0(VALU_DEP_4) | instskip(NEXT) | instid1(VALU_DEP_4)
	v_lshl_add_u32 v25, v25, 3, v98
	v_add_f32_e32 v16, v24, v16
	v_fma_f32 v24, 0xbf59a7d5, v127, -v29
	v_add_f32_e32 v23, v182, v23
	s_delay_alu instid0(VALU_DEP_2) | instskip(NEXT) | instid1(VALU_DEP_2)
	v_dual_add_f32 v17, v141, v17 :: v_dual_add_f32 v24, v24, v16
	v_add_f32_e32 v23, v184, v23
	s_delay_alu instid0(VALU_DEP_2) | instskip(NEXT) | instid1(VALU_DEP_3)
	v_dual_add_f32 v27, v43, v17 :: v_dual_add_f32 v16, v26, v22
	v_dual_add_f32 v21, v173, v21 :: v_dual_add_f32 v22, v28, v24
	s_delay_alu instid0(VALU_DEP_3) | instskip(NEXT) | instid1(VALU_DEP_2)
	v_add_f32_e32 v23, v186, v23
	v_add_f32_e32 v21, v172, v21
	s_delay_alu instid0(VALU_DEP_2) | instskip(NEXT) | instid1(VALU_DEP_1)
	v_add_f32_e32 v23, v188, v23
	v_add_f32_e32 v23, v190, v23
	s_delay_alu instid0(VALU_DEP_1)
	v_add_f32_e32 v17, v192, v23
	v_add_f32_e32 v23, v35, v27
	ds_store_2addr_b64 v25, v[0:1], v[18:19] offset1:1
	ds_store_2addr_b64 v25, v[143:144], v[146:147] offset0:2 offset1:3
	ds_store_2addr_b64 v25, v[91:92], v[89:90] offset0:4 offset1:5
	;; [unrolled: 1-line block ×7, first 2 shown]
	ds_store_b64 v25, v[22:23] offset:128
.LBB0_13:
	s_wait_alu 0xfffe
	s_or_b32 exec_lo, exec_lo, s0
	global_wb scope:SCOPE_SE
	s_wait_dscnt 0x0
	s_barrier_signal -1
	s_barrier_wait -1
	global_inv scope:SCOPE_SE
	ds_load_2addr_b64 v[0:3], v99 offset0:204 offset1:238
	s_wait_dscnt 0x0
	v_dual_mul_f32 v41, v60, v2 :: v_dual_add_nc_u32 v42, 0x800, v99
	ds_load_2addr_b64 v[16:19], v42 offset0:16 offset1:50
	ds_load_2addr_b64 v[20:23], v42 offset0:84 offset1:118
	;; [unrolled: 1-line block ×3, first 2 shown]
	ds_load_2addr_b64 v[28:31], v99 offset1:34
	ds_load_2addr_b64 v[32:35], v99 offset0:68 offset1:102
	ds_load_2addr_b64 v[36:39], v99 offset0:136 offset1:170
	v_mul_f32_e32 v40, v60, v3
	global_wb scope:SCOPE_SE
	s_wait_dscnt 0x0
	v_fma_f32 v3, v59, v3, -v41
	s_barrier_signal -1
	s_barrier_wait -1
	global_inv scope:SCOPE_SE
	v_dual_mul_f32 v41, v54, v17 :: v_dual_fmac_f32 v40, v59, v2
	v_dual_mul_f32 v43, v56, v19 :: v_dual_mul_f32 v2, v54, v16
	v_dual_mul_f32 v45, v56, v18 :: v_dual_mul_f32 v46, v58, v21
	s_delay_alu instid0(VALU_DEP_3) | instskip(NEXT) | instid1(VALU_DEP_3)
	v_fmac_f32_e32 v41, v53, v16
	v_dual_mul_f32 v54, v58, v20 :: v_dual_fmac_f32 v43, v55, v18
	s_delay_alu instid0(VALU_DEP_4)
	v_fma_f32 v17, v53, v17, -v2
	v_mul_f32_e32 v56, v52, v23
	v_dual_mul_f32 v52, v52, v22 :: v_dual_sub_f32 v3, v29, v3
	v_mul_f32_e32 v18, v48, v26
	v_fma_f32 v45, v55, v19, -v45
	v_fma_f32 v53, v57, v21, -v54
	v_mul_f32_e32 v2, v50, v24
	v_sub_f32_e32 v16, v30, v41
	v_fma_f32 v41, v47, v27, -v18
	v_sub_f32_e32 v17, v31, v17
	v_fmac_f32_e32 v56, v51, v22
	v_fma_f32 v51, v51, v23, -v52
	v_mul_f32_e32 v58, v50, v25
	v_fmac_f32_e32 v46, v57, v20
	v_fma_f32 v19, v29, 2.0, -v3
	v_sub_f32_e32 v23, v33, v45
	v_sub_f32_e32 v29, v37, v51
	v_fmac_f32_e32 v58, v49, v24
	v_fma_f32 v49, v49, v25, -v2
	v_dual_mul_f32 v50, v48, v27 :: v_dual_sub_f32 v25, v35, v53
	v_sub_f32_e32 v2, v28, v40
	v_fma_f32 v21, v31, 2.0, -v17
	v_sub_f32_e32 v24, v34, v46
	v_sub_f32_e32 v22, v32, v43
	v_fma_f32 v31, v35, 2.0, -v25
	v_sub_f32_e32 v35, v39, v49
	v_fmac_f32_e32 v50, v47, v26
	v_fma_f32 v18, v28, 2.0, -v2
	v_dual_sub_f32 v41, v1, v41 :: v_dual_sub_f32 v28, v36, v56
	v_fma_f32 v20, v30, 2.0, -v16
	s_delay_alu instid0(VALU_DEP_4)
	v_sub_f32_e32 v40, v0, v50
	v_fma_f32 v30, v34, 2.0, -v24
	v_sub_f32_e32 v34, v38, v58
	v_fma_f32 v26, v32, 2.0, -v22
	v_fma_f32 v27, v33, 2.0, -v23
	v_fma_f32 v32, v36, 2.0, -v28
	v_fma_f32 v33, v37, 2.0, -v29
	v_fma_f32 v0, v0, 2.0, -v40
	v_fma_f32 v1, v1, 2.0, -v41
	v_fma_f32 v36, v38, 2.0, -v34
	v_fma_f32 v37, v39, 2.0, -v35
	ds_store_2addr_b64 v100, v[18:19], v[2:3] offset1:17
	ds_store_2addr_b64 v106, v[20:21], v[16:17] offset1:17
	;; [unrolled: 1-line block ×7, first 2 shown]
	global_wb scope:SCOPE_SE
	s_wait_dscnt 0x0
	s_barrier_signal -1
	s_barrier_wait -1
	global_inv scope:SCOPE_SE
	ds_load_2addr_b64 v[0:3], v99 offset0:68 offset1:102
	ds_load_2addr_b64 v[16:19], v99 offset0:136 offset1:170
	ds_load_2addr_b64 v[20:23], v99 offset0:204 offset1:238
	ds_load_2addr_b64 v[24:27], v42 offset0:16 offset1:50
	ds_load_2addr_b64 v[28:31], v42 offset0:84 offset1:118
	ds_load_2addr_b64 v[32:35], v42 offset0:152 offset1:186
	ds_load_2addr_b64 v[36:39], v99 offset1:34
	global_wb scope:SCOPE_SE
	s_wait_dscnt 0x0
	s_barrier_signal -1
	s_barrier_wait -1
	global_inv scope:SCOPE_SE
	v_mul_f32_e32 v40, v13, v1
	v_mul_f32_e32 v41, v13, v0
	;; [unrolled: 1-line block ×3, first 2 shown]
	v_dual_mul_f32 v45, v15, v16 :: v_dual_mul_f32 v46, v5, v29
	s_delay_alu instid0(VALU_DEP_4) | instskip(NEXT) | instid1(VALU_DEP_4)
	v_fmac_f32_e32 v40, v12, v0
	v_fma_f32 v0, v12, v1, -v41
	s_delay_alu instid0(VALU_DEP_4) | instskip(NEXT) | instid1(VALU_DEP_4)
	v_fmac_f32_e32 v43, v14, v16
	v_fma_f32 v1, v14, v17, -v45
	v_dual_mul_f32 v16, v9, v21 :: v_dual_mul_f32 v45, v11, v24
	v_mul_f32_e32 v17, v9, v20
	s_delay_alu instid0(VALU_DEP_2) | instskip(NEXT) | instid1(VALU_DEP_3)
	v_dual_mul_f32 v41, v11, v25 :: v_dual_fmac_f32 v16, v8, v20
	v_fma_f32 v20, v10, v25, -v45
	v_mul_f32_e32 v25, v7, v32
	s_delay_alu instid0(VALU_DEP_4) | instskip(NEXT) | instid1(VALU_DEP_4)
	v_fma_f32 v17, v8, v21, -v17
	v_fmac_f32_e32 v41, v10, v24
	v_dual_mul_f32 v21, v5, v28 :: v_dual_mul_f32 v24, v7, v33
	s_delay_alu instid0(VALU_DEP_4)
	v_fma_f32 v25, v6, v33, -v25
	v_dual_mul_f32 v33, v11, v27 :: v_dual_fmac_f32 v46, v4, v28
	v_mul_f32_e32 v28, v13, v3
	v_mul_f32_e32 v13, v13, v2
	v_fma_f32 v21, v4, v29, -v21
	v_fmac_f32_e32 v24, v6, v32
	v_mul_f32_e32 v32, v15, v19
	v_fmac_f32_e32 v28, v12, v2
	v_fma_f32 v29, v12, v3, -v13
	v_mul_f32_e32 v2, v15, v18
	v_mul_f32_e32 v3, v9, v22
	v_dual_mul_f32 v15, v9, v23 :: v_dual_fmac_f32 v32, v14, v18
	v_add_f32_e32 v9, v17, v20
	s_delay_alu instid0(VALU_DEP_4) | instskip(NEXT) | instid1(VALU_DEP_4)
	v_fma_f32 v14, v14, v19, -v2
	v_fma_f32 v18, v8, v23, -v3
	v_dual_mul_f32 v2, v11, v26 :: v_dual_sub_f32 v11, v20, v17
	v_mul_f32_e32 v19, v5, v31
	v_mul_f32_e32 v3, v5, v30
	;; [unrolled: 1-line block ×3, first 2 shown]
	v_fmac_f32_e32 v15, v8, v22
	v_fmac_f32_e32 v33, v10, v26
	v_fma_f32 v23, v10, v27, -v2
	v_fma_f32 v26, v4, v31, -v3
	;; [unrolled: 1-line block ×3, first 2 shown]
	v_dual_add_f32 v2, v40, v24 :: v_dual_add_f32 v5, v43, v46
	v_add_f32_e32 v3, v0, v25
	v_add_f32_e32 v8, v16, v41
	v_dual_mul_f32 v22, v7, v35 :: v_dual_fmac_f32 v19, v4, v30
	v_dual_sub_f32 v4, v40, v24 :: v_dual_sub_f32 v7, v43, v46
	v_sub_f32_e32 v10, v41, v16
	v_add_f32_e32 v12, v5, v2
	v_dual_sub_f32 v16, v5, v2 :: v_dual_sub_f32 v5, v8, v5
	v_fmac_f32_e32 v22, v6, v34
	v_add_f32_e32 v6, v1, v21
	v_sub_f32_e32 v0, v0, v25
	v_sub_f32_e32 v1, v1, v21
	s_delay_alu instid0(VALU_DEP_3) | instskip(NEXT) | instid1(VALU_DEP_2)
	v_add_f32_e32 v13, v6, v3
	v_dual_add_f32 v21, v11, v1 :: v_dual_add_f32 v20, v10, v7
	v_sub_f32_e32 v25, v11, v1
	v_sub_f32_e32 v11, v0, v11
	;; [unrolled: 1-line block ×3, first 2 shown]
	v_dual_sub_f32 v2, v2, v8 :: v_dual_sub_f32 v3, v3, v9
	v_sub_f32_e32 v6, v9, v6
	v_dual_add_f32 v9, v9, v13 :: v_dual_sub_f32 v24, v10, v7
	v_dual_sub_f32 v10, v4, v10 :: v_dual_mul_f32 v25, 0x3f08b237, v25
	v_sub_f32_e32 v7, v7, v4
	v_add_f32_e32 v13, v21, v0
	v_dual_mul_f32 v3, 0x3f4a47b2, v3 :: v_dual_add_f32 v8, v8, v12
	v_dual_mul_f32 v21, 0x3d64c772, v6 :: v_dual_sub_f32 v12, v1, v0
	v_dual_add_f32 v1, v37, v9 :: v_dual_add_f32 v4, v20, v4
	v_mul_f32_e32 v20, 0x3d64c772, v5
	s_delay_alu instid0(VALU_DEP_3) | instskip(NEXT) | instid1(VALU_DEP_3)
	v_fma_f32 v21, 0x3f3bfb3b, v17, -v21
	v_fmamk_f32 v9, v9, 0xbf955555, v1
	s_delay_alu instid0(VALU_DEP_3)
	v_fma_f32 v20, 0x3f3bfb3b, v16, -v20
	v_fmamk_f32 v6, v6, 0x3d64c772, v3
	v_fma_f32 v3, 0xbf3bfb3b, v17, -v3
	v_fmamk_f32 v17, v11, 0xbeae86e6, v25
	v_dual_mul_f32 v30, 0xbf5ff5aa, v7 :: v_dual_mul_f32 v31, 0xbf5ff5aa, v12
	v_mul_f32_e32 v2, 0x3f4a47b2, v2
	v_add_f32_e32 v0, v36, v8
	v_fma_f32 v12, 0xbf5ff5aa, v12, -v25
	s_delay_alu instid0(VALU_DEP_4) | instskip(NEXT) | instid1(VALU_DEP_4)
	v_fma_f32 v25, 0x3eae86e6, v10, -v30
	v_dual_add_f32 v34, v3, v9 :: v_dual_fmamk_f32 v5, v5, 0x3d64c772, v2
	s_delay_alu instid0(VALU_DEP_4) | instskip(SKIP_1) | instid1(VALU_DEP_4)
	v_fmamk_f32 v8, v8, 0xbf955555, v0
	v_fma_f32 v2, 0xbf3bfb3b, v16, -v2
	v_fmac_f32_e32 v25, 0xbee1c552, v4
	v_mul_f32_e32 v24, 0x3f08b237, v24
	s_delay_alu instid0(VALU_DEP_4) | instskip(SKIP_1) | instid1(VALU_DEP_4)
	v_dual_fmac_f32 v17, 0xbee1c552, v13 :: v_dual_add_f32 v30, v5, v8
	v_fmac_f32_e32 v12, 0xbee1c552, v13
	v_sub_f32_e32 v5, v34, v25
	s_delay_alu instid0(VALU_DEP_4) | instskip(SKIP_3) | instid1(VALU_DEP_4)
	v_fmamk_f32 v16, v10, 0xbeae86e6, v24
	v_fma_f32 v10, 0x3eae86e6, v11, -v31
	v_add_f32_e32 v31, v6, v9
	v_fma_f32 v24, 0xbf5ff5aa, v7, -v24
	v_fmac_f32_e32 v16, 0xbee1c552, v4
	s_delay_alu instid0(VALU_DEP_2) | instskip(NEXT) | instid1(VALU_DEP_2)
	v_fmac_f32_e32 v24, 0xbee1c552, v4
	v_sub_f32_e32 v3, v31, v16
	v_dual_add_f32 v11, v20, v8 :: v_dual_add_f32 v20, v21, v9
	v_dual_add_f32 v21, v2, v8 :: v_dual_add_f32 v2, v17, v30
	s_delay_alu instid0(VALU_DEP_2)
	v_sub_f32_e32 v6, v11, v12
	v_add_f32_e32 v8, v12, v11
	v_dual_sub_f32 v12, v30, v17 :: v_dual_add_f32 v17, v29, v27
	v_dual_fmac_f32 v10, 0xbee1c552, v13 :: v_dual_add_f32 v11, v25, v34
	v_add_f32_e32 v13, v16, v31
	v_sub_f32_e32 v9, v20, v24
	s_delay_alu instid0(VALU_DEP_3)
	v_dual_add_f32 v7, v24, v20 :: v_dual_add_f32 v4, v10, v21
	v_add_f32_e32 v24, v14, v26
	v_dual_sub_f32 v14, v14, v26 :: v_dual_add_f32 v25, v15, v33
	v_sub_f32_e32 v20, v28, v22
	v_add_f32_e32 v16, v28, v22
	v_add_f32_e32 v26, v18, v23
	v_dual_sub_f32 v15, v33, v15 :: v_dual_sub_f32 v18, v23, v18
	v_add_f32_e32 v22, v32, v19
	v_sub_f32_e32 v19, v32, v19
	s_delay_alu instid0(VALU_DEP_1)
	v_dual_add_f32 v31, v18, v14 :: v_dual_add_f32 v30, v15, v19
	v_sub_f32_e32 v32, v15, v19
	v_dual_sub_f32 v19, v19, v20 :: v_dual_sub_f32 v10, v21, v10
	v_add_f32_e32 v23, v22, v16
	v_sub_f32_e32 v21, v29, v27
	v_dual_add_f32 v27, v24, v17 :: v_dual_sub_f32 v28, v22, v16
	v_sub_f32_e32 v29, v24, v17
	v_sub_f32_e32 v16, v16, v25
	;; [unrolled: 1-line block ×3, first 2 shown]
	v_add_f32_e32 v23, v25, v23
	v_add_f32_e32 v25, v26, v27
	v_dual_sub_f32 v34, v20, v15 :: v_dual_sub_f32 v33, v18, v14
	s_delay_alu instid0(VALU_DEP_2) | instskip(SKIP_3) | instid1(VALU_DEP_4)
	v_dual_sub_f32 v18, v21, v18 :: v_dual_add_f32 v15, v39, v25
	v_dual_sub_f32 v17, v17, v26 :: v_dual_sub_f32 v24, v26, v24
	v_sub_f32_e32 v26, v14, v21
	v_add_f32_e32 v21, v31, v21
	v_fmamk_f32 v25, v25, 0xbf955555, v15
	s_delay_alu instid0(VALU_DEP_4)
	v_mul_f32_e32 v17, 0x3f4a47b2, v17
	v_mul_f32_e32 v31, 0x3f08b237, v32
	;; [unrolled: 1-line block ×3, first 2 shown]
	v_dual_mul_f32 v35, 0xbf5ff5aa, v26 :: v_dual_add_f32 v20, v30, v20
	v_mul_f32_e32 v30, 0x3d64c772, v24
	v_mul_f32_e32 v32, 0x3f08b237, v33
	;; [unrolled: 1-line block ×3, first 2 shown]
	v_fmamk_f32 v24, v24, 0x3d64c772, v17
	v_fma_f32 v17, 0xbf3bfb3b, v29, -v17
	v_add_f32_e32 v14, v38, v23
	v_fma_f32 v30, 0x3f3bfb3b, v29, -v30
	v_fma_f32 v27, 0x3f3bfb3b, v28, -v27
	;; [unrolled: 1-line block ×3, first 2 shown]
	s_delay_alu instid0(VALU_DEP_4)
	v_fmamk_f32 v23, v23, 0xbf955555, v14
	v_fmamk_f32 v29, v18, 0xbeae86e6, v32
	v_fma_f32 v32, 0x3eae86e6, v34, -v33
	v_fma_f32 v33, 0x3eae86e6, v18, -v35
	v_add_f32_e32 v35, v24, v25
	v_add_f32_e32 v24, v30, v25
	v_dual_mul_f32 v16, 0x3f4a47b2, v16 :: v_dual_add_f32 v25, v17, v25
	s_delay_alu instid0(VALU_DEP_4) | instskip(SKIP_1) | instid1(VALU_DEP_3)
	v_dual_fmac_f32 v33, 0xbee1c552, v21 :: v_dual_fmac_f32 v32, 0xbee1c552, v20
	v_fmac_f32_e32 v26, 0xbee1c552, v21
	v_fmamk_f32 v22, v22, 0x3d64c772, v16
	v_fma_f32 v16, 0xbf3bfb3b, v28, -v16
	v_fmamk_f32 v28, v34, 0xbeae86e6, v31
	v_fma_f32 v31, 0xbf5ff5aa, v19, -v31
	s_delay_alu instid0(VALU_DEP_4) | instskip(SKIP_1) | instid1(VALU_DEP_3)
	v_dual_sub_f32 v19, v25, v32 :: v_dual_add_f32 v34, v22, v23
	v_dual_add_f32 v22, v27, v23 :: v_dual_fmac_f32 v29, 0xbee1c552, v21
	v_fmac_f32_e32 v31, 0xbee1c552, v20
	v_add_f32_e32 v27, v16, v23
	s_delay_alu instid0(VALU_DEP_3) | instskip(NEXT) | instid1(VALU_DEP_3)
	v_dual_add_f32 v25, v32, v25 :: v_dual_add_f32 v16, v29, v34
	v_add_f32_e32 v21, v31, v24
	v_fmac_f32_e32 v28, 0xbee1c552, v20
	s_delay_alu instid0(VALU_DEP_4) | instskip(SKIP_1) | instid1(VALU_DEP_3)
	v_add_f32_e32 v18, v33, v27
	v_dual_sub_f32 v23, v24, v31 :: v_dual_sub_f32 v24, v27, v33
	v_sub_f32_e32 v17, v35, v28
	v_dual_add_f32 v27, v28, v35 :: v_dual_sub_f32 v20, v22, v26
	v_add_f32_e32 v22, v26, v22
	v_sub_f32_e32 v26, v34, v29
	ds_store_2addr_b64 v99, v[0:1], v[2:3] offset1:34
	ds_store_2addr_b64 v99, v[4:5], v[6:7] offset0:68 offset1:102
	ds_store_2addr_b64 v99, v[8:9], v[10:11] offset0:136 offset1:170
	;; [unrolled: 1-line block ×6, first 2 shown]
	global_wb scope:SCOPE_SE
	s_wait_dscnt 0x0
	s_barrier_signal -1
	s_barrier_wait -1
	global_inv scope:SCOPE_SE
	ds_load_2addr_b64 v[0:3], v99 offset0:204 offset1:238
	ds_load_2addr_b64 v[4:7], v42 offset0:16 offset1:50
	;; [unrolled: 1-line block ×3, first 2 shown]
	ds_load_2addr_b64 v[12:15], v99 offset1:34
	ds_load_2addr_b64 v[16:19], v99 offset0:68 offset1:102
	ds_load_2addr_b64 v[20:23], v42 offset0:152 offset1:186
	;; [unrolled: 1-line block ×3, first 2 shown]
	s_wait_dscnt 0x6
	v_mul_f32_e32 v29, v70, v2
	s_wait_dscnt 0x5
	v_mul_f32_e32 v31, v74, v4
	v_mul_f32_e32 v30, v74, v5
	s_wait_dscnt 0x1
	v_mul_f32_e32 v35, v64, v21
	s_delay_alu instid0(VALU_DEP_3) | instskip(SKIP_4) | instid1(VALU_DEP_4)
	v_fma_f32 v5, v73, v5, -v31
	v_mul_f32_e32 v28, v70, v3
	v_fma_f32 v3, v69, v3, -v29
	v_mul_f32_e32 v29, v66, v7
	v_mul_f32_e32 v31, v72, v9
	v_dual_sub_f32 v5, v15, v5 :: v_dual_fmac_f32 v28, v69, v2
	s_delay_alu instid0(VALU_DEP_4) | instskip(SKIP_3) | instid1(VALU_DEP_4)
	v_dual_mul_f32 v2, v66, v6 :: v_dual_sub_f32 v3, v13, v3
	v_fmac_f32_e32 v30, v73, v4
	v_fmac_f32_e32 v29, v65, v6
	v_mul_f32_e32 v6, v68, v22
	v_fma_f32 v33, v65, v7, -v2
	v_dual_mul_f32 v2, v62, v10 :: v_dual_fmac_f32 v31, v71, v8
	v_dual_mul_f32 v36, v68, v23 :: v_dual_fmac_f32 v35, v63, v20
	v_fma_f32 v7, v13, 2.0, -v3
	s_delay_alu instid0(VALU_DEP_3)
	v_fma_f32 v37, v61, v11, -v2
	v_mul_f32_e32 v4, v72, v8
	v_sub_f32_e32 v2, v12, v28
	v_fma_f32 v28, v67, v23, -v6
	v_sub_f32_e32 v8, v16, v29
	v_fmac_f32_e32 v36, v67, v22
	v_fma_f32 v34, v71, v9, -v4
	v_dual_mul_f32 v4, v64, v20 :: v_dual_sub_f32 v9, v17, v33
	v_fma_f32 v6, v12, 2.0, -v2
	v_fma_f32 v12, v16, 2.0, -v8
	s_wait_dscnt 0x0
	v_sub_f32_e32 v22, v26, v35
	v_fma_f32 v38, v63, v21, -v4
	v_mul_f32_e32 v32, v62, v11
	v_fma_f32 v11, v15, 2.0, -v5
	v_sub_f32_e32 v15, v19, v34
	v_sub_f32_e32 v4, v14, v30
	;; [unrolled: 1-line block ×3, first 2 shown]
	v_fmac_f32_e32 v32, v61, v10
	v_fma_f32 v13, v17, 2.0, -v9
	v_sub_f32_e32 v17, v25, v37
	v_fma_f32 v10, v14, 2.0, -v4
	v_sub_f32_e32 v14, v18, v31
	v_sub_f32_e32 v16, v24, v32
	v_fma_f32 v19, v19, 2.0, -v15
	v_fma_f32 v21, v25, 2.0, -v17
	v_sub_f32_e32 v25, v1, v28
	v_add_nc_u32_e32 v28, 0x400, v108
	v_fma_f32 v20, v24, 2.0, -v16
	v_sub_f32_e32 v24, v0, v36
	v_fma_f32 v18, v18, 2.0, -v14
	v_fma_f32 v26, v26, 2.0, -v22
	;; [unrolled: 1-line block ×5, first 2 shown]
	ds_store_2addr_b64 v108, v[6:7], v[10:11] offset1:34
	ds_store_2addr_b64 v28, v[2:3], v[4:5] offset0:110 offset1:144
	ds_store_b64 v108, v[12:13] offset:544
	ds_store_b64 v113, v[8:9] offset:1904
	;; [unrolled: 1-line block ×10, first 2 shown]
	global_wb scope:SCOPE_SE
	s_wait_dscnt 0x0
	s_barrier_signal -1
	s_barrier_wait -1
	global_inv scope:SCOPE_SE
	s_and_b32 exec_lo, exec_lo, vcc_lo
	s_cbranch_execz .LBB0_15
; %bb.14:
	global_load_b64 v[0:1], v94, s[12:13]
	ds_load_b64 v[2:3], v108
	v_mad_co_u64_u32 v[6:7], null, s4, v97, 0
	s_mov_b32 s0, 0x1135c811
	s_mov_b32 s1, 0x3f6135c8
	v_lshl_add_u32 v10, v96, 3, v107
	s_mul_u64 s[2:3], s[4:5], 0xe0
	s_wait_loadcnt_dscnt 0x0
	v_mul_f32_e32 v4, v3, v1
	v_mul_f32_e32 v1, v2, v1
	s_delay_alu instid0(VALU_DEP_2) | instskip(NEXT) | instid1(VALU_DEP_2)
	v_fmac_f32_e32 v4, v2, v0
	v_fma_f32 v2, v0, v3, -v1
	s_delay_alu instid0(VALU_DEP_2) | instskip(NEXT) | instid1(VALU_DEP_2)
	v_cvt_f64_f32_e32 v[0:1], v4
	v_cvt_f64_f32_e32 v[2:3], v2
	v_mad_co_u64_u32 v[4:5], null, s6, v44, 0
	s_wait_alu 0xfffe
	s_delay_alu instid0(VALU_DEP_3) | instskip(NEXT) | instid1(VALU_DEP_3)
	v_mul_f64_e32 v[0:1], s[0:1], v[0:1]
	v_mul_f64_e32 v[2:3], s[0:1], v[2:3]
	s_delay_alu instid0(VALU_DEP_2) | instskip(NEXT) | instid1(VALU_DEP_2)
	v_cvt_f32_f64_e32 v0, v[0:1]
	v_cvt_f32_f64_e32 v1, v[2:3]
	v_dual_mov_b32 v3, v7 :: v_dual_mov_b32 v2, v5
	s_delay_alu instid0(VALU_DEP_1) | instskip(SKIP_1) | instid1(VALU_DEP_2)
	v_mad_co_u64_u32 v[7:8], null, s7, v44, v[2:3]
	v_mad_co_u64_u32 v[2:3], null, s5, v97, v[3:4]
	v_mov_b32_e32 v5, v7
	s_delay_alu instid0(VALU_DEP_2) | instskip(NEXT) | instid1(VALU_DEP_2)
	v_mov_b32_e32 v7, v2
	v_lshlrev_b64_e32 v[2:3], 3, v[4:5]
	s_delay_alu instid0(VALU_DEP_2) | instskip(NEXT) | instid1(VALU_DEP_2)
	v_lshlrev_b64_e32 v[4:5], 3, v[6:7]
	v_add_co_u32 v8, vcc_lo, s14, v2
	s_delay_alu instid0(VALU_DEP_3) | instskip(NEXT) | instid1(VALU_DEP_2)
	v_add_co_ci_u32_e32 v9, vcc_lo, s15, v3, vcc_lo
	v_add_co_u32 v4, vcc_lo, v8, v4
	s_wait_alu 0xfffd
	s_delay_alu instid0(VALU_DEP_2)
	v_add_co_ci_u32_e32 v5, vcc_lo, v9, v5, vcc_lo
	global_store_b64 v[4:5], v[0:1], off
	global_load_b64 v[6:7], v94, s[12:13] offset:224
	ds_load_2addr_b64 v[0:3], v10 offset0:28 offset1:56
	v_add_co_u32 v4, vcc_lo, v4, s2
	s_wait_alu 0xfffd
	v_add_co_ci_u32_e32 v5, vcc_lo, s3, v5, vcc_lo
	s_wait_loadcnt_dscnt 0x0
	v_mul_f32_e32 v11, v1, v7
	v_mul_f32_e32 v7, v0, v7
	s_delay_alu instid0(VALU_DEP_2) | instskip(NEXT) | instid1(VALU_DEP_2)
	v_fmac_f32_e32 v11, v0, v6
	v_fma_f32 v6, v6, v1, -v7
	s_delay_alu instid0(VALU_DEP_2) | instskip(NEXT) | instid1(VALU_DEP_2)
	v_cvt_f64_f32_e32 v[0:1], v11
	v_cvt_f64_f32_e32 v[6:7], v6
	s_delay_alu instid0(VALU_DEP_2) | instskip(NEXT) | instid1(VALU_DEP_2)
	v_mul_f64_e32 v[0:1], s[0:1], v[0:1]
	v_mul_f64_e32 v[6:7], s[0:1], v[6:7]
	s_delay_alu instid0(VALU_DEP_2) | instskip(NEXT) | instid1(VALU_DEP_2)
	v_cvt_f32_f64_e32 v0, v[0:1]
	v_cvt_f32_f64_e32 v1, v[6:7]
	global_store_b64 v[4:5], v[0:1], off
	global_load_b64 v[0:1], v94, s[12:13] offset:448
	v_add_co_u32 v4, vcc_lo, v4, s2
	s_wait_alu 0xfffd
	v_add_co_ci_u32_e32 v5, vcc_lo, s3, v5, vcc_lo
	s_wait_loadcnt 0x0
	v_mul_f32_e32 v6, v3, v1
	v_mul_f32_e32 v1, v2, v1
	s_delay_alu instid0(VALU_DEP_2) | instskip(NEXT) | instid1(VALU_DEP_2)
	v_fmac_f32_e32 v6, v2, v0
	v_fma_f32 v2, v0, v3, -v1
	s_delay_alu instid0(VALU_DEP_2) | instskip(NEXT) | instid1(VALU_DEP_2)
	v_cvt_f64_f32_e32 v[0:1], v6
	v_cvt_f64_f32_e32 v[2:3], v2
	s_delay_alu instid0(VALU_DEP_2) | instskip(NEXT) | instid1(VALU_DEP_2)
	v_mul_f64_e32 v[0:1], s[0:1], v[0:1]
	v_mul_f64_e32 v[2:3], s[0:1], v[2:3]
	s_delay_alu instid0(VALU_DEP_2) | instskip(NEXT) | instid1(VALU_DEP_2)
	v_cvt_f32_f64_e32 v0, v[0:1]
	v_cvt_f32_f64_e32 v1, v[2:3]
	global_store_b64 v[4:5], v[0:1], off
	global_load_b64 v[6:7], v94, s[12:13] offset:672
	ds_load_2addr_b64 v[0:3], v10 offset0:84 offset1:112
	v_add_co_u32 v4, vcc_lo, v4, s2
	s_wait_alu 0xfffd
	v_add_co_ci_u32_e32 v5, vcc_lo, s3, v5, vcc_lo
	s_wait_loadcnt_dscnt 0x0
	v_mul_f32_e32 v11, v1, v7
	v_mul_f32_e32 v7, v0, v7
	s_delay_alu instid0(VALU_DEP_2) | instskip(NEXT) | instid1(VALU_DEP_2)
	v_fmac_f32_e32 v11, v0, v6
	v_fma_f32 v6, v6, v1, -v7
	s_delay_alu instid0(VALU_DEP_2) | instskip(NEXT) | instid1(VALU_DEP_2)
	v_cvt_f64_f32_e32 v[0:1], v11
	v_cvt_f64_f32_e32 v[6:7], v6
	s_delay_alu instid0(VALU_DEP_2) | instskip(NEXT) | instid1(VALU_DEP_2)
	v_mul_f64_e32 v[0:1], s[0:1], v[0:1]
	v_mul_f64_e32 v[6:7], s[0:1], v[6:7]
	s_delay_alu instid0(VALU_DEP_2) | instskip(NEXT) | instid1(VALU_DEP_2)
	v_cvt_f32_f64_e32 v0, v[0:1]
	v_cvt_f32_f64_e32 v1, v[6:7]
	global_store_b64 v[4:5], v[0:1], off
	global_load_b64 v[0:1], v94, s[12:13] offset:896
	v_add_co_u32 v4, vcc_lo, v4, s2
	s_wait_alu 0xfffd
	v_add_co_ci_u32_e32 v5, vcc_lo, s3, v5, vcc_lo
	s_wait_loadcnt 0x0
	v_mul_f32_e32 v6, v3, v1
	v_mul_f32_e32 v1, v2, v1
	s_delay_alu instid0(VALU_DEP_2) | instskip(NEXT) | instid1(VALU_DEP_2)
	v_fmac_f32_e32 v6, v2, v0
	v_fma_f32 v2, v0, v3, -v1
	s_delay_alu instid0(VALU_DEP_2) | instskip(NEXT) | instid1(VALU_DEP_2)
	v_cvt_f64_f32_e32 v[0:1], v6
	v_cvt_f64_f32_e32 v[2:3], v2
	s_delay_alu instid0(VALU_DEP_2) | instskip(NEXT) | instid1(VALU_DEP_2)
	v_mul_f64_e32 v[0:1], s[0:1], v[0:1]
	v_mul_f64_e32 v[2:3], s[0:1], v[2:3]
	s_delay_alu instid0(VALU_DEP_2) | instskip(NEXT) | instid1(VALU_DEP_2)
	v_cvt_f32_f64_e32 v0, v[0:1]
	v_cvt_f32_f64_e32 v1, v[2:3]
	;; [unrolled: 41-line block ×3, first 2 shown]
	global_store_b64 v[4:5], v[0:1], off
	global_load_b64 v[6:7], v94, s[12:13] offset:1568
	ds_load_2addr_b64 v[0:3], v10 offset0:196 offset1:224
	v_add_co_u32 v4, vcc_lo, v4, s2
	s_wait_alu 0xfffd
	v_add_co_ci_u32_e32 v5, vcc_lo, s3, v5, vcc_lo
	s_wait_loadcnt_dscnt 0x0
	v_mul_f32_e32 v11, v1, v7
	v_mul_f32_e32 v7, v0, v7
	s_delay_alu instid0(VALU_DEP_2) | instskip(NEXT) | instid1(VALU_DEP_2)
	v_fmac_f32_e32 v11, v0, v6
	v_fma_f32 v6, v6, v1, -v7
	s_delay_alu instid0(VALU_DEP_2) | instskip(NEXT) | instid1(VALU_DEP_2)
	v_cvt_f64_f32_e32 v[0:1], v11
	v_cvt_f64_f32_e32 v[6:7], v6
	s_delay_alu instid0(VALU_DEP_2) | instskip(NEXT) | instid1(VALU_DEP_2)
	v_mul_f64_e32 v[0:1], s[0:1], v[0:1]
	v_mul_f64_e32 v[6:7], s[0:1], v[6:7]
	s_delay_alu instid0(VALU_DEP_2) | instskip(NEXT) | instid1(VALU_DEP_2)
	v_cvt_f32_f64_e32 v0, v[0:1]
	v_cvt_f32_f64_e32 v1, v[6:7]
	global_store_b64 v[4:5], v[0:1], off
	global_load_b64 v[0:1], v94, s[12:13] offset:1792
	v_mad_co_u64_u32 v[4:5], null, 0x1c0, s4, v[4:5]
	s_wait_loadcnt 0x0
	v_mul_f32_e32 v6, v3, v1
	v_mul_f32_e32 v1, v2, v1
	s_delay_alu instid0(VALU_DEP_2) | instskip(NEXT) | instid1(VALU_DEP_2)
	v_fmac_f32_e32 v6, v2, v0
	v_fma_f32 v2, v0, v3, -v1
	s_delay_alu instid0(VALU_DEP_2) | instskip(NEXT) | instid1(VALU_DEP_2)
	v_cvt_f64_f32_e32 v[0:1], v6
	v_cvt_f64_f32_e32 v[2:3], v2
	v_mad_co_u64_u32 v[6:7], null, s4, v95, 0
	s_delay_alu instid0(VALU_DEP_3) | instskip(NEXT) | instid1(VALU_DEP_3)
	v_mul_f64_e32 v[0:1], s[0:1], v[0:1]
	v_mul_f64_e32 v[2:3], s[0:1], v[2:3]
	s_delay_alu instid0(VALU_DEP_2) | instskip(NEXT) | instid1(VALU_DEP_2)
	v_cvt_f32_f64_e32 v0, v[0:1]
	v_cvt_f32_f64_e32 v1, v[2:3]
	v_mov_b32_e32 v2, v7
	s_delay_alu instid0(VALU_DEP_1) | instskip(NEXT) | instid1(VALU_DEP_1)
	v_mad_co_u64_u32 v[2:3], null, s5, v95, v[2:3]
	v_mov_b32_e32 v7, v2
	s_delay_alu instid0(VALU_DEP_1) | instskip(NEXT) | instid1(VALU_DEP_1)
	v_lshlrev_b64_e32 v[2:3], 3, v[6:7]
	v_add_co_u32 v2, vcc_lo, v8, v2
	s_wait_alu 0xfffd
	s_delay_alu instid0(VALU_DEP_2)
	v_add_co_ci_u32_e32 v3, vcc_lo, v9, v3, vcc_lo
	global_store_b64 v[2:3], v[0:1], off
	global_load_b64 v[6:7], v94, s[12:13] offset:2016
	v_add_nc_u32_e32 v0, 0x400, v10
	v_add_nc_u32_e32 v10, 0x800, v10
	ds_load_2addr_b64 v[0:3], v0 offset0:124 offset1:152
	s_wait_loadcnt_dscnt 0x0
	v_mul_f32_e32 v11, v1, v7
	v_mul_f32_e32 v7, v0, v7
	s_delay_alu instid0(VALU_DEP_2) | instskip(NEXT) | instid1(VALU_DEP_2)
	v_fmac_f32_e32 v11, v0, v6
	v_fma_f32 v6, v6, v1, -v7
	s_delay_alu instid0(VALU_DEP_2) | instskip(NEXT) | instid1(VALU_DEP_2)
	v_cvt_f64_f32_e32 v[0:1], v11
	v_cvt_f64_f32_e32 v[6:7], v6
	s_delay_alu instid0(VALU_DEP_2) | instskip(NEXT) | instid1(VALU_DEP_2)
	v_mul_f64_e32 v[0:1], s[0:1], v[0:1]
	v_mul_f64_e32 v[6:7], s[0:1], v[6:7]
	s_delay_alu instid0(VALU_DEP_2) | instskip(NEXT) | instid1(VALU_DEP_2)
	v_cvt_f32_f64_e32 v0, v[0:1]
	v_cvt_f32_f64_e32 v1, v[6:7]
	v_mad_co_u64_u32 v[5:6], null, 0x1c0, s5, v[5:6]
	global_store_b64 v[4:5], v[0:1], off
	global_load_b64 v[0:1], v94, s[12:13] offset:2240
	v_add_co_u32 v4, vcc_lo, v4, s2
	s_wait_alu 0xfffd
	v_add_co_ci_u32_e32 v5, vcc_lo, s3, v5, vcc_lo
	s_wait_loadcnt 0x0
	v_mul_f32_e32 v6, v3, v1
	v_mul_f32_e32 v1, v2, v1
	s_delay_alu instid0(VALU_DEP_2) | instskip(NEXT) | instid1(VALU_DEP_2)
	v_fmac_f32_e32 v6, v2, v0
	v_fma_f32 v2, v0, v3, -v1
	s_delay_alu instid0(VALU_DEP_2) | instskip(NEXT) | instid1(VALU_DEP_2)
	v_cvt_f64_f32_e32 v[0:1], v6
	v_cvt_f64_f32_e32 v[2:3], v2
	s_delay_alu instid0(VALU_DEP_2) | instskip(NEXT) | instid1(VALU_DEP_2)
	v_mul_f64_e32 v[0:1], s[0:1], v[0:1]
	v_mul_f64_e32 v[2:3], s[0:1], v[2:3]
	s_delay_alu instid0(VALU_DEP_2) | instskip(NEXT) | instid1(VALU_DEP_2)
	v_cvt_f32_f64_e32 v0, v[0:1]
	v_cvt_f32_f64_e32 v1, v[2:3]
	global_store_b64 v[4:5], v[0:1], off
	global_load_b64 v[6:7], v94, s[12:13] offset:2464
	ds_load_2addr_b64 v[0:3], v10 offset0:52 offset1:80
	v_add_co_u32 v4, vcc_lo, v4, s2
	s_wait_alu 0xfffd
	v_add_co_ci_u32_e32 v5, vcc_lo, s3, v5, vcc_lo
	s_wait_loadcnt_dscnt 0x0
	v_mul_f32_e32 v11, v1, v7
	v_mul_f32_e32 v7, v0, v7
	s_delay_alu instid0(VALU_DEP_2) | instskip(NEXT) | instid1(VALU_DEP_2)
	v_fmac_f32_e32 v11, v0, v6
	v_fma_f32 v6, v6, v1, -v7
	s_delay_alu instid0(VALU_DEP_2) | instskip(NEXT) | instid1(VALU_DEP_2)
	v_cvt_f64_f32_e32 v[0:1], v11
	v_cvt_f64_f32_e32 v[6:7], v6
	s_delay_alu instid0(VALU_DEP_2) | instskip(NEXT) | instid1(VALU_DEP_2)
	v_mul_f64_e32 v[0:1], s[0:1], v[0:1]
	v_mul_f64_e32 v[6:7], s[0:1], v[6:7]
	s_delay_alu instid0(VALU_DEP_2) | instskip(NEXT) | instid1(VALU_DEP_2)
	v_cvt_f32_f64_e32 v0, v[0:1]
	v_cvt_f32_f64_e32 v1, v[6:7]
	global_store_b64 v[4:5], v[0:1], off
	global_load_b64 v[0:1], v94, s[12:13] offset:2688
	v_add_co_u32 v4, vcc_lo, v4, s2
	s_wait_alu 0xfffd
	v_add_co_ci_u32_e32 v5, vcc_lo, s3, v5, vcc_lo
	s_wait_loadcnt 0x0
	v_mul_f32_e32 v6, v3, v1
	v_mul_f32_e32 v1, v2, v1
	s_delay_alu instid0(VALU_DEP_2) | instskip(NEXT) | instid1(VALU_DEP_2)
	v_fmac_f32_e32 v6, v2, v0
	v_fma_f32 v2, v0, v3, -v1
	s_delay_alu instid0(VALU_DEP_2) | instskip(NEXT) | instid1(VALU_DEP_2)
	v_cvt_f64_f32_e32 v[0:1], v6
	v_cvt_f64_f32_e32 v[2:3], v2
	s_delay_alu instid0(VALU_DEP_2) | instskip(NEXT) | instid1(VALU_DEP_2)
	v_mul_f64_e32 v[0:1], s[0:1], v[0:1]
	v_mul_f64_e32 v[2:3], s[0:1], v[2:3]
	s_delay_alu instid0(VALU_DEP_2) | instskip(NEXT) | instid1(VALU_DEP_2)
	v_cvt_f32_f64_e32 v0, v[0:1]
	v_cvt_f32_f64_e32 v1, v[2:3]
	global_store_b64 v[4:5], v[0:1], off
	global_load_b64 v[6:7], v94, s[12:13] offset:2912
	ds_load_2addr_b64 v[0:3], v10 offset0:108 offset1:136
	v_add_co_u32 v4, vcc_lo, v4, s2
	s_wait_alu 0xfffd
	v_add_co_ci_u32_e32 v5, vcc_lo, s3, v5, vcc_lo
	s_wait_loadcnt_dscnt 0x0
	v_mul_f32_e32 v11, v1, v7
	v_mul_f32_e32 v7, v0, v7
	s_delay_alu instid0(VALU_DEP_2) | instskip(NEXT) | instid1(VALU_DEP_2)
	v_fmac_f32_e32 v11, v0, v6
	v_fma_f32 v6, v6, v1, -v7
	s_delay_alu instid0(VALU_DEP_2) | instskip(NEXT) | instid1(VALU_DEP_2)
	v_cvt_f64_f32_e32 v[0:1], v11
	v_cvt_f64_f32_e32 v[6:7], v6
	s_delay_alu instid0(VALU_DEP_2) | instskip(NEXT) | instid1(VALU_DEP_2)
	v_mul_f64_e32 v[0:1], s[0:1], v[0:1]
	v_mul_f64_e32 v[6:7], s[0:1], v[6:7]
	s_delay_alu instid0(VALU_DEP_2) | instskip(NEXT) | instid1(VALU_DEP_2)
	v_cvt_f32_f64_e32 v0, v[0:1]
	v_cvt_f32_f64_e32 v1, v[6:7]
	;; [unrolled: 41-line block ×3, first 2 shown]
	global_store_b64 v[4:5], v[0:1], off
	global_load_b64 v[0:1], v94, s[12:13] offset:3584
	s_wait_loadcnt 0x0
	v_mul_f32_e32 v4, v3, v1
	v_mul_f32_e32 v1, v2, v1
	s_delay_alu instid0(VALU_DEP_2) | instskip(NEXT) | instid1(VALU_DEP_2)
	v_fmac_f32_e32 v4, v2, v0
	v_fma_f32 v2, v0, v3, -v1
	s_delay_alu instid0(VALU_DEP_2) | instskip(NEXT) | instid1(VALU_DEP_2)
	v_cvt_f64_f32_e32 v[0:1], v4
	v_cvt_f64_f32_e32 v[2:3], v2
	v_mad_co_u64_u32 v[4:5], null, s4, v93, 0
	s_delay_alu instid0(VALU_DEP_3) | instskip(NEXT) | instid1(VALU_DEP_3)
	v_mul_f64_e32 v[0:1], s[0:1], v[0:1]
	v_mul_f64_e32 v[2:3], s[0:1], v[2:3]
	s_delay_alu instid0(VALU_DEP_2) | instskip(NEXT) | instid1(VALU_DEP_2)
	v_cvt_f32_f64_e32 v0, v[0:1]
	v_cvt_f32_f64_e32 v1, v[2:3]
	v_mov_b32_e32 v2, v5
	s_delay_alu instid0(VALU_DEP_1) | instskip(NEXT) | instid1(VALU_DEP_1)
	v_mad_co_u64_u32 v[2:3], null, s5, v93, v[2:3]
	v_mov_b32_e32 v5, v2
	s_delay_alu instid0(VALU_DEP_1) | instskip(NEXT) | instid1(VALU_DEP_1)
	v_lshlrev_b64_e32 v[2:3], 3, v[4:5]
	v_add_co_u32 v2, vcc_lo, v8, v2
	s_wait_alu 0xfffd
	s_delay_alu instid0(VALU_DEP_2)
	v_add_co_ci_u32_e32 v3, vcc_lo, v9, v3, vcc_lo
	global_store_b64 v[2:3], v[0:1], off
.LBB0_15:
	s_nop 0
	s_sendmsg sendmsg(MSG_DEALLOC_VGPRS)
	s_endpgm
	.section	.rodata,"a",@progbits
	.p2align	6, 0x0
	.amdhsa_kernel bluestein_single_fwd_len476_dim1_sp_op_CI_CI
		.amdhsa_group_segment_fixed_size 11424
		.amdhsa_private_segment_fixed_size 0
		.amdhsa_kernarg_size 104
		.amdhsa_user_sgpr_count 2
		.amdhsa_user_sgpr_dispatch_ptr 0
		.amdhsa_user_sgpr_queue_ptr 0
		.amdhsa_user_sgpr_kernarg_segment_ptr 1
		.amdhsa_user_sgpr_dispatch_id 0
		.amdhsa_user_sgpr_private_segment_size 0
		.amdhsa_wavefront_size32 1
		.amdhsa_uses_dynamic_stack 0
		.amdhsa_enable_private_segment 0
		.amdhsa_system_sgpr_workgroup_id_x 1
		.amdhsa_system_sgpr_workgroup_id_y 0
		.amdhsa_system_sgpr_workgroup_id_z 0
		.amdhsa_system_sgpr_workgroup_info 0
		.amdhsa_system_vgpr_workitem_id 0
		.amdhsa_next_free_vgpr 201
		.amdhsa_next_free_sgpr 16
		.amdhsa_reserve_vcc 1
		.amdhsa_float_round_mode_32 0
		.amdhsa_float_round_mode_16_64 0
		.amdhsa_float_denorm_mode_32 3
		.amdhsa_float_denorm_mode_16_64 3
		.amdhsa_fp16_overflow 0
		.amdhsa_workgroup_processor_mode 1
		.amdhsa_memory_ordered 1
		.amdhsa_forward_progress 0
		.amdhsa_round_robin_scheduling 0
		.amdhsa_exception_fp_ieee_invalid_op 0
		.amdhsa_exception_fp_denorm_src 0
		.amdhsa_exception_fp_ieee_div_zero 0
		.amdhsa_exception_fp_ieee_overflow 0
		.amdhsa_exception_fp_ieee_underflow 0
		.amdhsa_exception_fp_ieee_inexact 0
		.amdhsa_exception_int_div_zero 0
	.end_amdhsa_kernel
	.text
.Lfunc_end0:
	.size	bluestein_single_fwd_len476_dim1_sp_op_CI_CI, .Lfunc_end0-bluestein_single_fwd_len476_dim1_sp_op_CI_CI
                                        ; -- End function
	.section	.AMDGPU.csdata,"",@progbits
; Kernel info:
; codeLenInByte = 21552
; NumSgprs: 18
; NumVgprs: 201
; ScratchSize: 0
; MemoryBound: 0
; FloatMode: 240
; IeeeMode: 1
; LDSByteSize: 11424 bytes/workgroup (compile time only)
; SGPRBlocks: 2
; VGPRBlocks: 25
; NumSGPRsForWavesPerEU: 18
; NumVGPRsForWavesPerEU: 201
; Occupancy: 7
; WaveLimiterHint : 1
; COMPUTE_PGM_RSRC2:SCRATCH_EN: 0
; COMPUTE_PGM_RSRC2:USER_SGPR: 2
; COMPUTE_PGM_RSRC2:TRAP_HANDLER: 0
; COMPUTE_PGM_RSRC2:TGID_X_EN: 1
; COMPUTE_PGM_RSRC2:TGID_Y_EN: 0
; COMPUTE_PGM_RSRC2:TGID_Z_EN: 0
; COMPUTE_PGM_RSRC2:TIDIG_COMP_CNT: 0
	.text
	.p2alignl 7, 3214868480
	.fill 96, 4, 3214868480
	.type	__hip_cuid_afc79bafd1b92536,@object ; @__hip_cuid_afc79bafd1b92536
	.section	.bss,"aw",@nobits
	.globl	__hip_cuid_afc79bafd1b92536
__hip_cuid_afc79bafd1b92536:
	.byte	0                               ; 0x0
	.size	__hip_cuid_afc79bafd1b92536, 1

	.ident	"AMD clang version 19.0.0git (https://github.com/RadeonOpenCompute/llvm-project roc-6.4.0 25133 c7fe45cf4b819c5991fe208aaa96edf142730f1d)"
	.section	".note.GNU-stack","",@progbits
	.addrsig
	.addrsig_sym __hip_cuid_afc79bafd1b92536
	.amdgpu_metadata
---
amdhsa.kernels:
  - .args:
      - .actual_access:  read_only
        .address_space:  global
        .offset:         0
        .size:           8
        .value_kind:     global_buffer
      - .actual_access:  read_only
        .address_space:  global
        .offset:         8
        .size:           8
        .value_kind:     global_buffer
      - .actual_access:  read_only
        .address_space:  global
        .offset:         16
        .size:           8
        .value_kind:     global_buffer
      - .actual_access:  read_only
        .address_space:  global
        .offset:         24
        .size:           8
        .value_kind:     global_buffer
      - .actual_access:  read_only
        .address_space:  global
        .offset:         32
        .size:           8
        .value_kind:     global_buffer
      - .offset:         40
        .size:           8
        .value_kind:     by_value
      - .address_space:  global
        .offset:         48
        .size:           8
        .value_kind:     global_buffer
      - .address_space:  global
        .offset:         56
        .size:           8
        .value_kind:     global_buffer
      - .address_space:  global
        .offset:         64
        .size:           8
        .value_kind:     global_buffer
      - .address_space:  global
        .offset:         72
        .size:           8
        .value_kind:     global_buffer
      - .offset:         80
        .size:           4
        .value_kind:     by_value
      - .address_space:  global
        .offset:         88
        .size:           8
        .value_kind:     global_buffer
      - .address_space:  global
        .offset:         96
        .size:           8
        .value_kind:     global_buffer
    .group_segment_fixed_size: 11424
    .kernarg_segment_align: 8
    .kernarg_segment_size: 104
    .language:       OpenCL C
    .language_version:
      - 2
      - 0
    .max_flat_workgroup_size: 102
    .name:           bluestein_single_fwd_len476_dim1_sp_op_CI_CI
    .private_segment_fixed_size: 0
    .sgpr_count:     18
    .sgpr_spill_count: 0
    .symbol:         bluestein_single_fwd_len476_dim1_sp_op_CI_CI.kd
    .uniform_work_group_size: 1
    .uses_dynamic_stack: false
    .vgpr_count:     201
    .vgpr_spill_count: 0
    .wavefront_size: 32
    .workgroup_processor_mode: 1
amdhsa.target:   amdgcn-amd-amdhsa--gfx1201
amdhsa.version:
  - 1
  - 2
...

	.end_amdgpu_metadata
